;; amdgpu-corpus repo=ROCm/rocFFT kind=compiled arch=gfx950 opt=O3
	.text
	.amdgcn_target "amdgcn-amd-amdhsa--gfx950"
	.amdhsa_code_object_version 6
	.protected	bluestein_single_back_len2040_dim1_half_op_CI_CI ; -- Begin function bluestein_single_back_len2040_dim1_half_op_CI_CI
	.globl	bluestein_single_back_len2040_dim1_half_op_CI_CI
	.p2align	8
	.type	bluestein_single_back_len2040_dim1_half_op_CI_CI,@function
bluestein_single_back_len2040_dim1_half_op_CI_CI: ; @bluestein_single_back_len2040_dim1_half_op_CI_CI
; %bb.0:
	s_load_dwordx4 s[8:11], s[0:1], 0x28
	v_mul_u32_u24_e32 v1, 0x182, v0
	v_mov_b32_e32 v29, 0
	v_add_u32_sdwa v32, s2, v1 dst_sel:DWORD dst_unused:UNUSED_PAD src0_sel:DWORD src1_sel:WORD_1
	v_mov_b32_e32 v33, v29
	s_waitcnt lgkmcnt(0)
	v_cmp_gt_u64_e32 vcc, s[8:9], v[32:33]
	s_and_saveexec_b64 s[2:3], vcc
	s_cbranch_execz .LBB0_23
; %bb.1:
	s_load_dwordx2 s[12:13], s[0:1], 0x0
	s_load_dwordx2 s[14:15], s[0:1], 0x38
	s_movk_i32 s2, 0xaa
	v_mul_lo_u16_sdwa v1, v1, s2 dst_sel:DWORD dst_unused:UNUSED_PAD src0_sel:WORD_1 src1_sel:DWORD
	v_sub_u16_e32 v28, v0, v1
	s_movk_i32 s2, 0x78
	v_cmp_gt_u16_e32 vcc, s2, v28
	v_lshlrev_b32_e32 v30, 2, v28
	s_and_saveexec_b64 s[8:9], vcc
	s_cbranch_execz .LBB0_3
; %bb.2:
	s_load_dwordx2 s[2:3], s[0:1], 0x18
	v_mov_b32_e32 v0, s10
	v_mov_b32_e32 v1, s11
	;; [unrolled: 1-line block ×3, first 2 shown]
	v_or_b32_e32 v21, 0x780, v28
	s_waitcnt lgkmcnt(0)
	s_load_dwordx4 s[4:7], s[2:3], 0x0
	v_lshlrev_b32_e32 v22, 2, v21
	s_waitcnt lgkmcnt(0)
	v_mad_u64_u32 v[2:3], s[2:3], s6, v32, 0
	v_mad_u64_u32 v[4:5], s[2:3], s4, v28, 0
	v_mov_b32_e32 v6, v3
	v_mov_b32_e32 v8, v5
	v_mad_u64_u32 v[6:7], s[2:3], s7, v32, v[6:7]
	v_mov_b32_e32 v3, v6
	v_mad_u64_u32 v[6:7], s[2:3], s5, v28, v[8:9]
	v_mov_b32_e32 v5, v6
	v_lshl_add_u64 v[0:1], v[2:3], 2, v[0:1]
	v_lshl_add_u64 v[2:3], v[4:5], 2, v[0:1]
	global_load_dword v6, v[2:3], off
	v_mov_b32_e32 v7, 0x1e0
	global_load_dword v8, v30, s[12:13]
	v_mad_u64_u32 v[2:3], s[2:3], s4, v7, v[2:3]
	s_mul_i32 s6, s5, 0x1e0
	v_add_u32_e32 v3, s6, v3
	global_load_dword v9, v[2:3], off
	global_load_dword v10, v30, s[12:13] offset:480
	v_mad_u64_u32 v[2:3], s[2:3], s4, v7, v[2:3]
	v_add_u32_e32 v3, s6, v3
	global_load_dword v11, v[2:3], off
	global_load_dword v12, v30, s[12:13] offset:960
	v_mad_u64_u32 v[2:3], s[2:3], s4, v7, v[2:3]
	;; [unrolled: 4-line block ×3, first 2 shown]
	v_add_u32_e32 v3, s6, v3
	global_load_dword v15, v[2:3], off
	global_load_dword v16, v30, s[12:13] offset:1920
	s_movk_i32 s2, 0x1000
	v_lshl_add_u64 v[4:5], s[12:13], 0, v[30:31]
	v_add_co_u32_e64 v4, s[2:3], s2, v4
	global_load_dword v17, v30, s[12:13] offset:2400
	global_load_dword v18, v30, s[12:13] offset:2880
	;; [unrolled: 1-line block ×4, first 2 shown]
	v_addc_co_u32_e64 v5, s[2:3], 0, v5, s[2:3]
	v_mad_u64_u32 v[2:3], s[2:3], s4, v7, v[2:3]
	v_add_u32_e32 v3, s6, v3
	global_load_dword v23, v[2:3], off
	v_mad_u64_u32 v[2:3], s[2:3], s4, v7, v[2:3]
	v_add_u32_e32 v3, s6, v3
	global_load_dword v24, v[2:3], off
	;; [unrolled: 3-line block ×6, first 2 shown]
	v_mad_u64_u32 v[2:3], s[2:3], s4, v7, v[2:3]
	v_add_u32_e32 v3, s6, v3
	global_load_dword v22, v22, s[12:13]
	s_waitcnt vmcnt(20)
	v_lshrrev_b32_e32 v33, 16, v6
	s_waitcnt vmcnt(19)
	v_mul_f16_sdwa v34, v8, v6 dst_sel:DWORD dst_unused:UNUSED_PAD src0_sel:WORD_1 src1_sel:DWORD
	v_mul_f16_sdwa v35, v8, v33 dst_sel:DWORD dst_unused:UNUSED_PAD src0_sel:WORD_1 src1_sel:DWORD
	v_fma_f16 v33, v8, v33, -v34
	v_fma_f16 v6, v8, v6, v35
	s_waitcnt vmcnt(18)
	v_lshrrev_b32_e32 v8, 16, v9
	s_waitcnt vmcnt(17)
	v_mul_f16_sdwa v34, v10, v9 dst_sel:DWORD dst_unused:UNUSED_PAD src0_sel:WORD_1 src1_sel:DWORD
	v_pack_b32_f16 v6, v6, v33
	v_mul_f16_sdwa v33, v10, v8 dst_sel:DWORD dst_unused:UNUSED_PAD src0_sel:WORD_1 src1_sel:DWORD
	v_fma_f16 v8, v10, v8, -v34
	v_fma_f16 v9, v10, v9, v33
	v_pack_b32_f16 v8, v9, v8
	ds_write2_b32 v30, v6, v8 offset1:120
	global_load_dword v6, v[4:5], off offset:224
	s_waitcnt vmcnt(17)
	v_lshrrev_b32_e32 v10, 16, v11
	s_waitcnt vmcnt(16)
	v_mul_f16_sdwa v33, v12, v11 dst_sel:DWORD dst_unused:UNUSED_PAD src0_sel:WORD_1 src1_sel:DWORD
	v_mul_f16_sdwa v9, v12, v10 dst_sel:DWORD dst_unused:UNUSED_PAD src0_sel:WORD_1 src1_sel:DWORD
	v_fma_f16 v10, v12, v10, -v33
	v_fma_f16 v8, v12, v11, v9
	s_waitcnt vmcnt(15)
	v_lshrrev_b32_e32 v9, 16, v13
	s_waitcnt vmcnt(14)
	v_mul_f16_sdwa v11, v14, v13 dst_sel:DWORD dst_unused:UNUSED_PAD src0_sel:WORD_1 src1_sel:DWORD
	v_pack_b32_f16 v8, v8, v10
	v_mul_f16_sdwa v10, v14, v9 dst_sel:DWORD dst_unused:UNUSED_PAD src0_sel:WORD_1 src1_sel:DWORD
	v_fma_f16 v9, v14, v9, -v11
	global_load_dword v11, v[4:5], off offset:704
	v_fma_f16 v10, v14, v13, v10
	v_pack_b32_f16 v9, v10, v9
	global_load_dword v10, v[2:3], off
	global_load_dword v12, v[4:5], off offset:1184
	v_add_u32_e32 v13, 0x200, v30
	v_mad_u64_u32 v[2:3], s[2:3], s4, v7, v[2:3]
	ds_write2_b32 v13, v8, v9 offset0:112 offset1:232
	v_add_u32_e32 v3, s6, v3
	global_load_dword v9, v[2:3], off
	global_load_dword v13, v[4:5], off offset:1664
	v_mad_u64_u32 v[2:3], s[2:3], s4, v7, v[2:3]
	v_add_u32_e32 v3, s6, v3
	s_waitcnt vmcnt(18)
	v_lshrrev_b32_e32 v8, 16, v15
	global_load_dword v33, v[2:3], off
	global_load_dword v34, v[4:5], off offset:2144
	s_waitcnt vmcnt(19)
	v_mul_f16_sdwa v14, v16, v8 dst_sel:DWORD dst_unused:UNUSED_PAD src0_sel:WORD_1 src1_sel:DWORD
	v_mad_u64_u32 v[2:3], s[2:3], s4, v7, v[2:3]
	v_fma_f16 v14, v16, v15, v14
	v_mul_f16_sdwa v15, v16, v15 dst_sel:DWORD dst_unused:UNUSED_PAD src0_sel:WORD_1 src1_sel:DWORD
	v_add_u32_e32 v3, s6, v3
	v_fma_f16 v8, v16, v8, -v15
	global_load_dword v15, v[2:3], off
	global_load_dword v16, v[4:5], off offset:2624
	v_mad_u64_u32 v[2:3], s[2:3], s4, v7, v[2:3]
	v_add_u32_e32 v3, s6, v3
	global_load_dword v7, v[2:3], off
	global_load_dword v35, v[4:5], off offset:3104
	v_mad_u64_u32 v[2:3], s[2:3], s4, v21, 0
	v_mov_b32_e32 v4, v3
	v_mad_u64_u32 v[4:5], s[2:3], s5, v21, v[4:5]
	v_mov_b32_e32 v3, v4
	v_lshl_add_u64 v[0:1], v[2:3], 2, v[0:1]
	global_load_dword v0, v[0:1], off
	s_waitcnt vmcnt(19)
	v_lshrrev_b32_e32 v2, 16, v23
	v_mul_f16_sdwa v3, v17, v2 dst_sel:DWORD dst_unused:UNUSED_PAD src0_sel:WORD_1 src1_sel:DWORD
	v_mul_f16_sdwa v4, v17, v23 dst_sel:DWORD dst_unused:UNUSED_PAD src0_sel:WORD_1 src1_sel:DWORD
	v_fma_f16 v3, v17, v23, v3
	v_fma_f16 v2, v17, v2, -v4
	v_pack_b32_f16 v1, v14, v8
	v_pack_b32_f16 v2, v3, v2
	v_add_u32_e32 v3, 0x600, v30
	ds_write2_b32 v3, v1, v2 offset0:96 offset1:216
	s_waitcnt vmcnt(18)
	v_lshrrev_b32_e32 v1, 16, v24
	v_mul_f16_sdwa v2, v18, v1 dst_sel:DWORD dst_unused:UNUSED_PAD src0_sel:WORD_1 src1_sel:DWORD
	v_mul_f16_sdwa v3, v18, v24 dst_sel:DWORD dst_unused:UNUSED_PAD src0_sel:WORD_1 src1_sel:DWORD
	v_fma_f16 v2, v18, v24, v2
	v_fma_f16 v1, v18, v1, -v3
	v_pack_b32_f16 v1, v2, v1
	s_waitcnt vmcnt(17)
	v_lshrrev_b32_e32 v2, 16, v25
	v_mul_f16_sdwa v3, v19, v2 dst_sel:DWORD dst_unused:UNUSED_PAD src0_sel:WORD_1 src1_sel:DWORD
	v_mul_f16_sdwa v4, v19, v25 dst_sel:DWORD dst_unused:UNUSED_PAD src0_sel:WORD_1 src1_sel:DWORD
	v_fma_f16 v3, v19, v25, v3
	v_fma_f16 v2, v19, v2, -v4
	v_pack_b32_f16 v2, v3, v2
	v_add_u32_e32 v3, 0xa00, v30
	ds_write2_b32 v3, v1, v2 offset0:80 offset1:200
	s_waitcnt vmcnt(16)
	v_lshrrev_b32_e32 v1, 16, v26
	v_mul_f16_sdwa v2, v20, v1 dst_sel:DWORD dst_unused:UNUSED_PAD src0_sel:WORD_1 src1_sel:DWORD
	v_mul_f16_sdwa v3, v20, v26 dst_sel:DWORD dst_unused:UNUSED_PAD src0_sel:WORD_1 src1_sel:DWORD
	v_fma_f16 v2, v20, v26, v2
	v_fma_f16 v1, v20, v1, -v3
	v_pack_b32_f16 v1, v2, v1
	s_waitcnt vmcnt(15)
	v_lshrrev_b32_e32 v2, 16, v27
	s_waitcnt vmcnt(12)
	v_mul_f16_sdwa v3, v6, v2 dst_sel:DWORD dst_unused:UNUSED_PAD src0_sel:WORD_1 src1_sel:DWORD
	v_mul_f16_sdwa v4, v6, v27 dst_sel:DWORD dst_unused:UNUSED_PAD src0_sel:WORD_1 src1_sel:DWORD
	v_fma_f16 v3, v6, v27, v3
	v_fma_f16 v2, v6, v2, -v4
	v_pack_b32_f16 v2, v3, v2
	v_add_u32_e32 v3, 0xe00, v30
	ds_write2_b32 v3, v1, v2 offset0:64 offset1:184
	v_lshrrev_b32_e32 v1, 16, v31
	s_waitcnt vmcnt(11)
	v_mul_f16_sdwa v2, v11, v1 dst_sel:DWORD dst_unused:UNUSED_PAD src0_sel:WORD_1 src1_sel:DWORD
	v_mul_f16_sdwa v3, v11, v31 dst_sel:DWORD dst_unused:UNUSED_PAD src0_sel:WORD_1 src1_sel:DWORD
	v_fma_f16 v2, v11, v31, v2
	v_fma_f16 v1, v11, v1, -v3
	v_pack_b32_f16 v1, v2, v1
	s_waitcnt vmcnt(10)
	v_lshrrev_b32_e32 v2, 16, v10
	s_waitcnt vmcnt(9)
	v_mul_f16_sdwa v3, v12, v2 dst_sel:DWORD dst_unused:UNUSED_PAD src0_sel:WORD_1 src1_sel:DWORD
	v_mul_f16_sdwa v4, v12, v10 dst_sel:DWORD dst_unused:UNUSED_PAD src0_sel:WORD_1 src1_sel:DWORD
	v_fma_f16 v3, v12, v10, v3
	v_fma_f16 v2, v12, v2, -v4
	v_pack_b32_f16 v2, v3, v2
	v_add_u32_e32 v3, 0x1200, v30
	ds_write2_b32 v3, v1, v2 offset0:48 offset1:168
	s_waitcnt vmcnt(8)
	v_lshrrev_b32_e32 v1, 16, v9
	s_waitcnt vmcnt(7)
	v_mul_f16_sdwa v2, v13, v1 dst_sel:DWORD dst_unused:UNUSED_PAD src0_sel:WORD_1 src1_sel:DWORD
	v_mul_f16_sdwa v3, v13, v9 dst_sel:DWORD dst_unused:UNUSED_PAD src0_sel:WORD_1 src1_sel:DWORD
	v_fma_f16 v2, v13, v9, v2
	v_fma_f16 v1, v13, v1, -v3
	v_pack_b32_f16 v1, v2, v1
	s_waitcnt vmcnt(6)
	v_lshrrev_b32_e32 v2, 16, v33
	s_waitcnt vmcnt(5)
	v_mul_f16_sdwa v3, v34, v2 dst_sel:DWORD dst_unused:UNUSED_PAD src0_sel:WORD_1 src1_sel:DWORD
	v_mul_f16_sdwa v4, v34, v33 dst_sel:DWORD dst_unused:UNUSED_PAD src0_sel:WORD_1 src1_sel:DWORD
	v_fma_f16 v3, v34, v33, v3
	v_fma_f16 v2, v34, v2, -v4
	v_pack_b32_f16 v2, v3, v2
	v_add_u32_e32 v3, 0x1600, v30
	ds_write2_b32 v3, v1, v2 offset0:32 offset1:152
	s_waitcnt vmcnt(4)
	;; [unrolled: 18-line block ×3, first 2 shown]
	v_lshrrev_b32_e32 v1, 16, v0
	v_mul_f16_sdwa v2, v22, v1 dst_sel:DWORD dst_unused:UNUSED_PAD src0_sel:WORD_1 src1_sel:DWORD
	v_fma_f16 v2, v22, v0, v2
	v_mul_f16_sdwa v0, v22, v0 dst_sel:DWORD dst_unused:UNUSED_PAD src0_sel:WORD_1 src1_sel:DWORD
	v_fma_f16 v0, v22, v1, -v0
	v_pack_b32_f16 v0, v2, v0
	ds_write_b32 v30, v0 offset:7680
.LBB0_3:
	s_or_b64 exec, exec, s[8:9]
	s_load_dwordx2 s[4:5], s[0:1], 0x20
	s_load_dwordx2 s[2:3], s[0:1], 0x8
	v_mov_b32_e32 v0, 0
	s_waitcnt lgkmcnt(0)
	s_barrier
	s_waitcnt lgkmcnt(0)
                                        ; implicit-def: $vgpr12
                                        ; implicit-def: $vgpr26
                                        ; implicit-def: $vgpr27
                                        ; implicit-def: $vgpr14
                                        ; implicit-def: $vgpr34
                                        ; implicit-def: $vgpr35
                                        ; implicit-def: $vgpr37
                                        ; implicit-def: $vgpr36
                                        ; implicit-def: $vgpr11
                                        ; implicit-def: $vgpr33
                                        ; implicit-def: $vgpr21
                                        ; implicit-def: $vgpr9
                                        ; implicit-def: $vgpr22
                                        ; implicit-def: $vgpr23
                                        ; implicit-def: $vgpr7
                                        ; implicit-def: $vgpr24
                                        ; implicit-def: $vgpr25
                                        ; implicit-def: $vgpr5
                                        ; implicit-def: $vgpr16
                                        ; implicit-def: $vgpr17
                                        ; implicit-def: $vgpr3
                                        ; implicit-def: $vgpr18
                                        ; implicit-def: $vgpr19
                                        ; implicit-def: $vgpr20
	s_and_saveexec_b64 s[0:1], vcc
	s_cbranch_execz .LBB0_5
; %bb.4:
	v_add_u32_e32 v2, 0x200, v30
	v_add_u32_e32 v4, 0x600, v30
	v_add_u32_e32 v6, 0xa00, v30
	v_add_u32_e32 v8, 0xe00, v30
	v_add_u32_e32 v10, 0x1200, v30
	v_add_u32_e32 v12, 0x1600, v30
	v_add_u32_e32 v14, 0x1a00, v30
	ds_read2_b32 v[0:1], v30 offset1:120
	ds_read2_b32 v[2:3], v2 offset0:112 offset1:232
	ds_read2_b32 v[4:5], v4 offset0:96 offset1:216
	;; [unrolled: 1-line block ×7, first 2 shown]
	ds_read_b32 v37, v30 offset:7680
	s_waitcnt lgkmcnt(8)
	v_lshrrev_b32_e32 v20, 16, v1
	s_waitcnt lgkmcnt(7)
	v_lshrrev_b32_e32 v19, 16, v2
	v_lshrrev_b32_e32 v18, 16, v3
	s_waitcnt lgkmcnt(6)
	v_lshrrev_b32_e32 v17, 16, v4
	v_lshrrev_b32_e32 v16, 16, v5
	s_waitcnt lgkmcnt(5)
	v_lshrrev_b32_e32 v25, 16, v6
	v_lshrrev_b32_e32 v24, 16, v7
	s_waitcnt lgkmcnt(4)
	v_lshrrev_b32_e32 v23, 16, v8
	v_lshrrev_b32_e32 v22, 16, v9
	s_waitcnt lgkmcnt(3)
	v_lshrrev_b32_e32 v21, 16, v10
	v_lshrrev_b32_e32 v33, 16, v11
	s_waitcnt lgkmcnt(2)
	v_lshrrev_b32_e32 v26, 16, v12
	v_lshrrev_b32_e32 v27, 16, v13
	s_waitcnt lgkmcnt(1)
	v_lshrrev_b32_e32 v34, 16, v14
	v_lshrrev_b32_e32 v35, 16, v15
	s_waitcnt lgkmcnt(0)
	v_lshrrev_b32_e32 v36, 16, v37
.LBB0_5:
	s_or_b64 exec, exec, s[0:1]
	v_sub_f16_e32 v73, v20, v36
	v_add_f16_e32 v53, v37, v1
	s_movk_i32 s7, 0x3722
	v_mul_f16_e32 v40, 0xbb29, v73
	s_movk_i32 s6, 0x39e9
	v_mul_f16_e32 v38, 0xb964, v73
	v_fma_f16 v39, v53, s7, v40
	v_sub_f16_e32 v80, v19, v35
	v_fma_f16 v31, v53, s6, v38
	v_add_f16_e32 v41, v39, v0
	s_movk_i32 s9, 0x2de8
	v_add_f16_e32 v55, v15, v2
	v_mul_f16_e32 v39, 0xbbf7, v80
	v_add_f16_e32 v31, v31, v0
	v_fma_f16 v42, v55, s9, v39
	s_mov_b32 s16, 0xb8d2
	v_mul_f16_e32 v47, 0xba62, v80
	v_add_f16_e32 v31, v42, v31
	v_fma_f16 v42, v55, s16, v47
	v_sub_f16_e32 v95, v18, v34
	v_add_f16_e32 v42, v42, v41
	v_add_f16_e32 v56, v14, v3
	v_mul_f16_e32 v41, 0xba62, v95
	s_mov_b32 s11, 0xbbdd
	v_fma_f16 v43, v56, s16, v41
	v_mul_f16_e32 v49, 0x31e1, v95
	v_sub_f16_e32 v102, v17, v27
	v_add_f16_e32 v31, v43, v31
	v_fma_f16 v43, v56, s11, v49
	v_add_f16_e32 v59, v13, v4
	v_mul_f16_e32 v48, 0xb1e1, v102
	s_mov_b32 s10, 0xb461
	v_add_f16_e32 v42, v43, v42
	v_fma_f16 v43, v59, s11, v48
	v_mul_f16_e32 v51, 0x3bb2, v102
	v_sub_f16_e32 v117, v16, v26
	s_mov_b32 s17, 0xbacd
	v_add_f16_e32 v31, v43, v31
	v_fma_f16 v43, v59, s10, v51
	v_add_f16_e32 v60, v12, v5
	v_mul_f16_e32 v50, 0x3836, v117
	v_add_f16_e32 v42, v43, v42
	v_fma_f16 v43, v60, s17, v50
	v_mul_f16_e32 v54, 0x3964, v117
	v_sub_f16_e32 v124, v25, v33
	v_add_f16_e32 v31, v43, v31
	v_fma_f16 v43, v60, s6, v54
	v_add_f16_e32 v67, v11, v6
	v_mul_f16_e32 v52, 0x3bb2, v124
	s_movk_i32 s8, 0x3b76
	v_add_f16_e32 v42, v43, v42
	v_fma_f16 v43, v67, s10, v52
	v_mul_f16_e32 v58, 0xb5c8, v124
	v_sub_f16_e32 v136, v24, v21
	v_add_f16_e32 v31, v43, v31
	v_fma_f16 v43, v67, s8, v58
	v_add_f16_e32 v68, v10, v7
	v_mul_f16_e32 v57, 0x3b29, v136
	v_add_f16_e32 v42, v43, v42
	v_fma_f16 v43, v68, s7, v57
	v_mul_f16_e32 v66, 0xbbf7, v136
	v_sub_f16_e32 v143, v23, v22
	v_add_f16_e32 v31, v43, v31
	v_fma_f16 v43, v68, s9, v66
	v_add_f16_e32 v72, v9, v8
	v_mul_f16_e32 v61, 0x35c8, v143
	v_add_f16_e32 v42, v43, v42
	v_fma_f16 v43, v72, s8, v61
	v_mul_f16_e32 v69, 0xb836, v143
	v_add_f16_e32 v43, v43, v31
	v_fma_f16 v31, v72, s17, v69
	;; [unrolled: 3-line block ×19, first 2 shown]
	v_mul_f16_e32 v71, 0xb964, v80
	v_sub_f16_e32 v146, v1, v37
	v_add_f16_e32 v31, v31, v0
	v_fma_f16 v46, v55, s6, v71
	v_add_f16_e32 v138, v36, v20
	v_mul_f16_e32 v74, 0xb5c8, v146
	v_sub_f16_e32 v147, v2, v15
	v_add_f16_e32 v31, v46, v31
	v_fma_f16 v46, v138, s8, -v74
	v_add_f16_e32 v127, v35, v19
	v_mul_f16_e32 v75, 0xb964, v147
	v_add_f16_sdwa v46, v46, v0 dst_sel:DWORD dst_unused:UNUSED_PAD src0_sel:DWORD src1_sel:WORD_1
	v_fma_f16 v62, v127, s6, -v75
	v_mul_f16_e32 v86, 0xb964, v146
	v_add_f16_e32 v46, v62, v46
	v_fma_f16 v62, v138, s6, -v86
	v_mul_f16_e32 v87, 0xbbf7, v147
	v_add_f16_sdwa v62, v62, v0 dst_sel:DWORD dst_unused:UNUSED_PAD src0_sel:DWORD src1_sel:WORD_1
	v_fma_f16 v63, v127, s9, -v87
	v_mul_f16_e32 v96, 0xbb29, v146
	v_add_f16_e32 v62, v63, v62
	v_fma_f16 v63, v138, s7, -v96
	;; [unrolled: 6-line block ×4, first 2 shown]
	v_mul_f16_e32 v141, 0x3836, v147
	v_add_f16_sdwa v65, v65, v0 dst_sel:DWORD dst_unused:UNUSED_PAD src0_sel:DWORD src1_sel:WORD_1
	v_fma_f16 v76, v127, s17, -v141
	v_add_f16_e32 v65, v76, v65
	v_mul_f16_e32 v76, 0xbb29, v95
	v_sub_f16_e32 v150, v3, v14
	v_fma_f16 v77, v56, s7, v76
	v_add_f16_e32 v130, v34, v18
	v_mul_f16_e32 v81, 0xbb29, v150
	v_add_f16_e32 v31, v77, v31
	v_fma_f16 v77, v130, s7, -v81
	v_mul_f16_e32 v93, 0xba62, v150
	v_add_f16_e32 v46, v77, v46
	v_fma_f16 v77, v130, s16, -v93
	v_mul_f16_e32 v101, 0x31e1, v150
	v_add_f16_e32 v62, v77, v62
	v_fma_f16 v77, v130, s11, -v101
	v_mul_f16_e32 v125, 0x3bb2, v150
	v_add_f16_e32 v63, v77, v63
	v_fma_f16 v77, v130, s10, -v125
	v_mul_f16_e32 v144, 0x3964, v150
	v_add_f16_e32 v64, v77, v64
	v_fma_f16 v77, v130, s6, -v144
	v_add_f16_e32 v65, v77, v65
	v_mul_f16_e32 v77, 0xbbf7, v102
	v_sub_f16_e32 v152, v4, v13
	v_fma_f16 v89, v59, s9, v77
	v_add_f16_e32 v129, v27, v17
	v_mul_f16_e32 v91, 0xbbf7, v152
	v_add_f16_e32 v31, v89, v31
	v_fma_f16 v89, v129, s9, -v91
	v_mul_f16_e32 v99, 0xb1e1, v152
	v_add_f16_e32 v46, v89, v46
	v_fma_f16 v89, v129, s11, -v99
	v_mul_f16_e32 v113, 0x3bb2, v152
	v_add_f16_e32 v62, v89, v62
	v_fma_f16 v89, v129, s10, -v113
	v_mul_f16_e32 v128, 0x35c8, v152
	v_add_f16_e32 v63, v89, v63
	v_fma_f16 v89, v129, s8, -v128
	v_mul_f16_e32 v148, 0xbb29, v152
	v_add_f16_e32 v64, v89, v64
	;; [unrolled: 20-line block ×4, first 2 shown]
	v_fma_f16 v98, v133, s9, -v151
	v_add_f16_e32 v65, v98, v65
	v_mul_f16_e32 v98, 0xb836, v136
	v_fma_f16 v104, v68, s17, v98
	v_sub_f16_e32 v157, v7, v10
	v_add_f16_e32 v159, v104, v31
	v_add_f16_e32 v135, v21, v24
	v_mul_f16_e32 v104, 0xb836, v157
	v_fma_f16 v31, v135, s17, -v104
	v_mul_f16_e32 v119, 0x3b29, v157
	v_add_f16_e32 v31, v31, v46
	v_fma_f16 v46, v135, s7, -v119
	v_mul_f16_e32 v126, 0xbbf7, v157
	v_add_f16_e32 v46, v46, v62
	;; [unrolled: 3-line block ×3, first 2 shown]
	v_fma_f16 v63, v135, s16, -v142
	v_mul_f16_e32 v153, 0xb5c8, v157
	v_sub_f16_e32 v158, v8, v9
	v_add_f16_e32 v116, v63, v64
	v_fma_f16 v63, v135, s8, -v153
	v_add_f16_e32 v137, v22, v23
	v_mul_f16_e32 v112, 0xb1e1, v158
	v_add_f16_e32 v160, v63, v65
	v_fma_f16 v63, v137, s11, -v112
	v_mul_f16_e32 v122, 0x35c8, v158
	v_add_f16_e32 v63, v63, v31
	v_fma_f16 v31, v137, s8, -v122
	;; [unrolled: 3-line block ×5, first 2 shown]
	v_mul_f16_e32 v116, 0xb1e1, v143
	v_add_f16_e32 v62, v46, v160
	v_fma_f16 v46, v72, s11, v116
	s_mov_b32 s20, 0xb5c8
	s_mov_b32 s18, 0xb964
	;; [unrolled: 1-line block ×7, first 2 shown]
	s_movk_i32 s33, 0x3836
	s_movk_i32 s34, 0x31e1
	;; [unrolled: 1-line block ×5, first 2 shown]
	s_mov_b32 s24, 0xb836
	s_movk_i32 s22, 0x3bf7
	s_movk_i32 s21, 0x3b29
	;; [unrolled: 1-line block ×3, first 2 shown]
	v_add_f16_e32 v46, v46, v159
	s_barrier
	s_and_saveexec_b64 s[0:1], vcc
	s_cbranch_execz .LBB0_7
; %bb.6:
	v_mul_f16_e32 v159, 0xb8d2, v138
	v_fma_f16 v160, v146, s29, v159
	v_mul_f16_e32 v161, 0xb461, v127
	v_add_f16_sdwa v160, v160, v0 dst_sel:DWORD dst_unused:UNUSED_PAD src0_sel:DWORD src1_sel:WORD_1
	v_fma_f16 v162, v147, s26, v161
	v_add_f16_e32 v160, v162, v160
	v_mul_f16_e32 v162, 0x3b76, v130
	v_fma_f16 v163, v150, s30, v162
	v_add_f16_e32 v160, v163, v160
	v_mul_f16_e32 v163, 0xbacd, v129
	;; [unrolled: 3-line block ×7, first 2 shown]
	v_fma_f16 v169, v53, s16, v168
	v_mul_f16_e32 v170, 0x3bb2, v80
	v_add_f16_e32 v169, v169, v0
	v_fma_f16 v171, v55, s10, v170
	v_add_f16_e32 v169, v171, v169
	v_mul_f16_e32 v171, 0xb5c8, v95
	v_fma_f16 v172, v56, s8, v171
	v_add_f16_e32 v169, v172, v169
	v_mul_f16_e32 v172, 0xb836, v102
	;; [unrolled: 3-line block ×7, first 2 shown]
	v_fma_f16 v178, v146, s33, v177
	v_mul_f16_e32 v179, 0x3722, v127
	v_add_f16_sdwa v178, v178, v0 dst_sel:DWORD dst_unused:UNUSED_PAD src0_sel:DWORD src1_sel:WORD_1
	v_fma_f16 v180, v147, s31, v179
	v_add_f16_e32 v178, v180, v178
	v_mul_f16_e32 v180, 0x2de8, v130
	v_fma_f16 v181, v150, s22, v180
	v_add_f16_e32 v178, v181, v178
	v_mul_f16_e32 v181, 0xb8d2, v129
	;; [unrolled: 3-line block ×7, first 2 shown]
	v_fma_f16 v187, v53, s17, v186
	v_mul_f16_e32 v188, 0x3b29, v80
	v_add_f16_e32 v187, v187, v0
	v_fma_f16 v189, v55, s7, v188
	v_add_f16_e32 v187, v189, v187
	v_mul_f16_e32 v189, 0xbbf7, v95
	v_fma_f16 v190, v56, s9, v189
	v_add_f16_e32 v187, v190, v187
	v_mul_f16_e32 v190, 0x3a62, v102
	;; [unrolled: 3-line block ×7, first 2 shown]
	v_fma_f16 v196, v146, s34, v195
	v_mul_f16_e32 v197, 0x3b76, v127
	v_add_f16_sdwa v196, v196, v0 dst_sel:DWORD dst_unused:UNUSED_PAD src0_sel:DWORD src1_sel:WORD_1
	v_fma_f16 v198, v147, s20, v197
	v_add_f16_e32 v196, v198, v196
	v_mul_f16_e32 v198, 0xbacd, v130
	v_fma_f16 v199, v150, s33, v198
	v_add_f16_e32 v196, v199, v196
	v_mul_f16_e32 v199, 0x39e9, v129
	;; [unrolled: 3-line block ×6, first 2 shown]
	v_fma_f16 v204, v158, s28, v203
	v_mul_f16_e32 v73, 0xb1e1, v73
	v_add_f16_e32 v196, v204, v196
	v_fma_f16 v204, v53, s11, v73
	v_mul_f16_e32 v80, 0x35c8, v80
	v_fma_f16 v73, v53, s11, -v73
	v_fma_f16 v205, v55, s8, v80
	v_mul_f16_e32 v95, 0xb836, v95
	v_add_f16_e32 v73, v73, v0
	v_fma_f16 v80, v55, s8, -v80
	v_mul_f16_e32 v102, 0x3964, v102
	v_add_f16_e32 v73, v80, v73
	v_fma_f16 v80, v56, s17, -v95
	;; [unrolled: 3-line block ×6, first 2 shown]
	v_add_f16_e32 v73, v80, v73
	v_fma_f16 v80, v72, s9, -v143
	v_add_f16_e32 v204, v204, v0
	v_add_f16_e32 v73, v80, v73
	v_fma_f16 v80, v146, s24, v177
	v_add_f16_e32 v204, v205, v204
	v_fma_f16 v205, v56, s17, v95
	v_add_f16_sdwa v80, v80, v0 dst_sel:DWORD dst_unused:UNUSED_PAD src0_sel:DWORD src1_sel:WORD_1
	v_fma_f16 v95, v147, s21, v179
	v_add_f16_e32 v80, v95, v80
	v_fma_f16 v95, v150, s28, v180
	v_add_f16_e32 v80, v95, v80
	;; [unrolled: 2-line block ×7, first 2 shown]
	v_fma_f16 v95, v53, s17, -v186
	v_add_f16_e32 v204, v205, v204
	v_fma_f16 v205, v59, s6, v102
	v_add_f16_e32 v95, v95, v0
	v_fma_f16 v102, v55, s7, -v188
	v_add_f16_e32 v95, v102, v95
	v_fma_f16 v102, v56, s9, -v189
	;; [unrolled: 2-line block ×3, first 2 shown]
	v_add_f16_e32 v204, v205, v204
	v_fma_f16 v205, v60, s16, v117
	v_add_f16_e32 v95, v102, v95
	v_fma_f16 v102, v60, s8, -v191
	v_add_f16_e32 v204, v205, v204
	v_fma_f16 v205, v67, s7, v124
	v_add_f16_e32 v95, v102, v95
	v_fma_f16 v102, v67, s11, -v192
	;; [unrolled: 4-line block ×4, first 2 shown]
	v_fma_f16 v143, v53, s16, -v168
	v_fma_f16 v195, v146, s19, v195
	v_add_f16_e32 v95, v102, v95
	v_fma_f16 v102, v146, s23, v159
	v_add_f16_e32 v143, v143, v0
	v_fma_f16 v146, v55, s10, -v170
	v_add_f16_sdwa v195, v195, v0 dst_sel:DWORD dst_unused:UNUSED_PAD src0_sel:DWORD src1_sel:WORD_1
	v_fma_f16 v197, v147, s30, v197
	v_fma_f16 v117, v147, s25, v161
	v_add_f16_sdwa v102, v102, v0 dst_sel:DWORD dst_unused:UNUSED_PAD src0_sel:DWORD src1_sel:WORD_1
	v_add_f16_e32 v143, v146, v143
	v_fma_f16 v147, v56, s8, -v171
	v_add_f16_e32 v195, v197, v195
	v_fma_f16 v197, v150, s24, v198
	v_add_f16_e32 v102, v117, v102
	v_fma_f16 v117, v150, s20, v162
	v_add_f16_e32 v143, v147, v143
	v_fma_f16 v150, v59, s17, -v172
	v_add_f16_e32 v195, v197, v195
	v_fma_f16 v197, v152, s27, v199
	v_add_f16_e32 v102, v117, v102
	v_fma_f16 v117, v152, s24, v163
	;; [unrolled: 6-line block ×3, first 2 shown]
	v_add_f16_e32 v143, v152, v143
	v_fma_f16 v154, v67, s6, -v174
	v_mul_f16_e32 v136, 0x3b76, v138
	v_mul_f16_e32 v146, 0x39e9, v138
	;; [unrolled: 1-line block ×3, first 2 shown]
	v_add_f16_e32 v143, v154, v143
	v_mul_f16_e32 v154, 0x2de8, v138
	v_mul_f16_e32 v138, 0xb461, v138
	v_add_f16_e32 v138, v140, v138
	v_mul_f16_e32 v140, 0xbacd, v127
	v_add_f16_e32 v140, v141, v140
	v_add_f16_sdwa v138, v138, v0 dst_sel:DWORD dst_unused:UNUSED_PAD src0_sel:DWORD src1_sel:WORD_1
	v_add_f16_e32 v138, v140, v138
	v_mul_f16_e32 v140, 0x39e9, v130
	v_add_f16_e32 v140, v144, v140
	v_add_f16_e32 v138, v140, v138
	v_mul_f16_e32 v140, 0x3722, v129
	v_add_f16_e32 v102, v117, v102
	v_fma_f16 v117, v156, s18, v165
	v_add_f16_e32 v140, v148, v140
	v_add_f16_e32 v102, v117, v102
	v_fma_f16 v117, v157, s19, v166
	v_add_f16_e32 v138, v140, v138
	v_mul_f16_e32 v140, 0xbbdd, v131
	v_add_f16_e32 v102, v117, v102
	v_fma_f16 v124, v158, s21, v167
	v_add_f16_e32 v140, v149, v140
	v_add_f16_e32 v195, v197, v195
	v_fma_f16 v197, v156, s21, v201
	v_mul_f16_e32 v117, 0x3b76, v53
	v_add_f16_e32 v102, v124, v102
	v_mul_f16_e32 v124, 0x39e9, v53
	v_mul_f16_e32 v147, 0x3722, v53
	;; [unrolled: 1-line block ×4, first 2 shown]
	v_fma_f16 v156, v68, s11, -v175
	v_add_f16_e32 v138, v140, v138
	v_mul_f16_e32 v140, 0x2de8, v133
	v_add_f16_e32 v143, v156, v143
	v_mul_f16_e32 v156, 0x39e9, v55
	v_mul_f16_e32 v141, 0x2de8, v55
	;; [unrolled: 1-line block ×3, first 2 shown]
	v_add_f16_e32 v140, v151, v140
	v_mul_f16_e32 v151, 0xbbdd, v55
	v_mul_f16_e32 v55, 0xbacd, v55
	v_sub_f16_e32 v53, v53, v105
	v_sub_f16_e32 v55, v55, v106
	v_add_f16_e32 v53, v53, v0
	v_add_f16_e32 v53, v55, v53
	v_mul_f16_e32 v55, 0x39e9, v56
	v_sub_f16_e32 v55, v55, v107
	v_add_f16_e32 v53, v55, v53
	v_mul_f16_e32 v55, 0x3722, v59
	v_sub_f16_e32 v55, v55, v108
	;; [unrolled: 3-line block ×4, first 2 shown]
	v_add_f16_e32 v138, v140, v138
	v_mul_f16_e32 v140, 0x3b76, v135
	v_add_f16_e32 v53, v55, v53
	v_mul_f16_e32 v55, 0x3b76, v68
	v_add_f16_e32 v195, v197, v195
	v_fma_f16 v197, v157, s26, v202
	v_fma_f16 v157, v72, s7, -v176
	v_add_f16_e32 v140, v153, v140
	v_sub_f16_e32 v55, v55, v111
	v_add_f16_e32 v143, v157, v143
	v_mul_f16_e32 v157, 0x39e9, v127
	v_mul_f16_e32 v144, 0x2de8, v127
	;; [unrolled: 1-line block ×4, first 2 shown]
	v_add_f16_e32 v138, v140, v138
	v_mul_f16_e32 v140, 0xb8d2, v137
	v_add_f16_e32 v53, v55, v53
	v_mul_f16_e32 v55, 0xb8d2, v72
	v_add_f16_e32 v120, v120, v154
	v_add_f16_e32 v140, v155, v140
	v_mul_f16_e32 v155, 0x3722, v130
	v_mul_f16_e32 v105, 0xb8d2, v130
	v_mul_f16_e32 v107, 0xbbdd, v130
	v_mul_f16_e32 v130, 0xb461, v130
	v_sub_f16_e32 v55, v55, v115
	v_add_f16_e32 v121, v121, v127
	v_add_f16_sdwa v120, v120, v0 dst_sel:DWORD dst_unused:UNUSED_PAD src0_sel:DWORD src1_sel:WORD_1
	v_mul_f16_e32 v109, 0x2de8, v129
	v_mul_f16_e32 v111, 0xbbdd, v129
	v_add_f16_e32 v53, v55, v53
	v_mul_f16_e32 v55, 0xb461, v129
	v_mul_f16_e32 v129, 0x3b76, v129
	v_add_f16_e32 v120, v121, v120
	v_add_f16_e32 v125, v125, v130
	v_sub_f16_e32 v38, v124, v38
	v_add_f16_e32 v138, v140, v138
	v_mul_f16_e32 v140, 0xb8d2, v56
	v_mul_f16_e32 v127, 0xb461, v131
	;; [unrolled: 1-line block ×3, first 2 shown]
	v_add_f16_e32 v120, v125, v120
	v_add_f16_e32 v128, v128, v129
	v_mul_f16_e32 v129, 0x39e9, v131
	v_mul_f16_e32 v131, 0x3722, v131
	v_add_f16_e32 v38, v38, v0
	v_sub_f16_e32 v39, v141, v39
	v_mul_f16_e32 v110, 0xbbdd, v59
	v_add_f16_e32 v120, v128, v120
	v_add_f16_e32 v131, v134, v131
	v_sub_f16_e32 v78, v152, v78
	v_add_f16_e32 v38, v39, v38
	v_sub_f16_e32 v39, v140, v41
	v_mul_f16_e32 v153, 0x3722, v56
	v_mul_f16_e32 v106, 0xbbdd, v56
	;; [unrolled: 1-line block ×4, first 2 shown]
	v_add_f16_e32 v120, v131, v120
	v_mul_f16_e32 v131, 0xbacd, v133
	v_sub_f16_e32 v79, v151, v79
	v_add_f16_e32 v78, v78, v0
	v_add_f16_e32 v38, v39, v38
	v_sub_f16_e32 v39, v110, v48
	v_mul_f16_e32 v108, 0x2de8, v59
	v_mul_f16_e32 v115, 0xb461, v59
	;; [unrolled: 1-line block ×3, first 2 shown]
	v_add_f16_e32 v131, v139, v131
	v_mul_f16_e32 v139, 0xb461, v67
	v_add_f16_e32 v78, v79, v78
	v_sub_f16_e32 v56, v56, v82
	v_add_f16_e32 v38, v39, v38
	v_sub_f16_e32 v39, v121, v50
	v_mul_f16_e32 v151, 0x3722, v68
	v_add_f16_e32 v56, v56, v78
	v_sub_f16_e32 v59, v59, v83
	v_add_f16_e32 v38, v39, v38
	v_sub_f16_e32 v39, v139, v52
	v_add_f16_e32 v56, v59, v56
	v_mul_f16_e32 v59, 0x3b76, v72
	v_add_f16_e32 v38, v39, v38
	v_sub_f16_e32 v39, v151, v57
	v_add_f16_e32 v38, v39, v38
	v_sub_f16_e32 v39, v59, v61
	v_sub_f16_e32 v40, v147, v40
	v_add_f16_e32 v38, v39, v38
	v_add_f16_e32 v39, v74, v136
	v_add_f16_e32 v120, v131, v120
	v_mul_f16_e32 v131, 0xb8d2, v135
	v_add_f16_e32 v40, v40, v0
	v_sub_f16_e32 v47, v148, v47
	v_add_f16_sdwa v39, v39, v0 dst_sel:DWORD dst_unused:UNUSED_PAD src0_sel:DWORD src1_sel:WORD_1
	v_add_f16_e32 v41, v75, v157
	v_add_f16_e32 v131, v142, v131
	v_add_f16_e32 v40, v47, v40
	v_sub_f16_e32 v47, v106, v49
	v_add_f16_e32 v39, v41, v39
	v_add_f16_e32 v41, v81, v155
	v_mul_f16_e32 v154, 0xb461, v60
	v_mul_f16_e32 v125, 0x39e9, v60
	;; [unrolled: 1-line block ×3, first 2 shown]
	v_add_f16_e32 v120, v131, v120
	v_mul_f16_e32 v131, 0x39e9, v137
	v_add_f16_e32 v40, v47, v40
	v_sub_f16_e32 v47, v115, v51
	v_add_f16_e32 v39, v41, v39
	v_add_f16_e32 v41, v91, v109
	v_mul_f16_e32 v128, 0xb8d2, v67
	v_mul_f16_e32 v134, 0xb8d2, v133
	v_add_f16_e32 v131, v145, v131
	v_mul_f16_e32 v145, 0x3b76, v67
	v_mul_f16_e32 v67, 0xbacd, v67
	v_sub_f16_e32 v60, v60, v84
	v_add_f16_e32 v40, v47, v40
	v_sub_f16_e32 v47, v125, v54
	v_add_f16_e32 v39, v41, v39
	v_add_f16_e32 v41, v94, v127
	v_add_f16_e32 v120, v131, v120
	v_mul_f16_e32 v131, 0xbacd, v68
	v_mul_f16_e32 v152, 0xbacd, v135
	;; [unrolled: 1-line block ×4, first 2 shown]
	v_add_f16_e32 v56, v60, v56
	v_sub_f16_e32 v67, v67, v85
	v_add_f16_e32 v40, v47, v40
	v_sub_f16_e32 v47, v145, v58
	v_add_f16_e32 v39, v41, v39
	v_add_f16_e32 v41, v100, v134
	v_mul_f16_e32 v78, 0xbbdd, v72
	v_mul_f16_e32 v83, 0xbbdd, v137
	;; [unrolled: 1-line block ×4, first 2 shown]
	v_add_f16_e32 v56, v67, v56
	v_sub_f16_e32 v67, v68, v88
	v_add_f16_e32 v40, v47, v40
	v_sub_f16_e32 v47, v82, v66
	v_add_f16_e32 v39, v41, v39
	v_add_f16_e32 v41, v104, v152
	;; [unrolled: 1-line block ×3, first 2 shown]
	v_sub_f16_e32 v67, v72, v90
	v_add_f16_e32 v40, v47, v40
	v_sub_f16_e32 v47, v60, v69
	v_add_f16_e32 v39, v41, v39
	v_add_f16_e32 v41, v112, v83
	;; [unrolled: 1-line block ×7, first 2 shown]
	v_sub_f16_e32 v41, v117, v70
	v_add_f16_sdwa v67, v67, v0 dst_sel:DWORD dst_unused:UNUSED_PAD src0_sel:DWORD src1_sel:WORD_1
	v_add_f16_sdwa v47, v47, v0 dst_sel:DWORD dst_unused:UNUSED_PAD src0_sel:DWORD src1_sel:WORD_1
	v_add_f16_e32 v41, v41, v0
	v_add_f16_e32 v1, v1, v0
	v_add_f16_sdwa v0, v20, v0 dst_sel:DWORD dst_unused:UNUSED_PAD src0_sel:DWORD src1_sel:WORD_1
	v_add_f16_e32 v1, v2, v1
	v_add_f16_e32 v0, v19, v0
	;; [unrolled: 1-line block ×14, first 2 shown]
	v_sub_f16_e32 v48, v156, v71
	v_add_f16_e32 v1, v9, v1
	v_add_f16_e32 v0, v22, v0
	v_add_f16_e32 v68, v97, v149
	v_add_f16_e32 v49, v87, v144
	v_add_f16_e32 v41, v48, v41
	v_sub_f16_e32 v48, v153, v76
	v_add_f16_e32 v1, v10, v1
	v_add_f16_e32 v0, v21, v0
	v_add_f16_e32 v67, v68, v67
	v_add_f16_e32 v68, v101, v107
	v_add_f16_e32 v47, v49, v47
	v_add_f16_e32 v49, v93, v105
	v_add_f16_e32 v41, v48, v41
	v_sub_f16_e32 v48, v108, v77
	v_add_f16_e32 v1, v11, v1
	v_add_f16_e32 v0, v33, v0
	;; [unrolled: 8-line block ×3, first 2 shown]
	v_mul_f16_e32 v142, 0xb461, v133
	v_mul_f16_e32 v133, 0x3b76, v133
	v_add_f16_e32 v55, v55, v67
	v_add_f16_e32 v67, v118, v129
	v_add_f16_e32 v47, v49, v47
	v_add_f16_e32 v49, v103, v130
	v_add_f16_e32 v41, v48, v41
	v_sub_f16_e32 v48, v128, v92
	v_add_f16_e32 v1, v13, v1
	v_add_f16_e32 v0, v27, v0
	v_mul_f16_e32 v79, 0x3722, v135
	v_mul_f16_e32 v135, 0x2de8, v135
	v_add_f16_e32 v55, v67, v55
	v_add_f16_e32 v67, v123, v133
	v_add_f16_e32 v47, v49, v47
	v_add_f16_e32 v49, v114, v142
	v_add_f16_e32 v41, v48, v41
	v_sub_f16_e32 v48, v131, v98
	v_add_f16_e32 v1, v14, v1
	v_add_f16_e32 v0, v34, v0
	;; [unrolled: 10-line block ×3, first 2 shown]
	v_add_f16_e32 v55, v67, v55
	v_add_f16_e32 v67, v132, v137
	;; [unrolled: 1-line block ×7, first 2 shown]
	v_mul_lo_u16_e32 v2, 17, v28
	v_add_f16_e32 v55, v67, v55
	v_add_f16_e32 v47, v49, v47
	v_lshlrev_b32_e32 v2, 2, v2
	v_pack_b32_f16 v3, v41, v39
	v_pack_b32_f16 v0, v1, v0
	ds_write2_b32 v2, v0, v3 offset1:1
	v_pack_b32_f16 v0, v40, v55
	v_pack_b32_f16 v1, v38, v47
	v_add_f16_e32 v195, v197, v195
	v_fma_f16 v197, v158, s22, v203
	ds_write2_b32 v2, v1, v0 offset0:2 offset1:3
	v_pack_b32_f16 v0, v53, v138
	v_pack_b32_f16 v1, v56, v120
	v_add_f16_e32 v204, v205, v204
	v_add_f16_e32 v195, v197, v195
	ds_write2_b32 v2, v1, v0 offset0:4 offset1:5
	v_pack_b32_f16 v0, v95, v80
	v_pack_b32_f16 v1, v143, v102
	ds_write2_b32 v2, v1, v0 offset0:6 offset1:7
	v_pack_b32_f16 v0, v204, v196
	v_pack_b32_f16 v1, v73, v195
	;; [unrolled: 3-line block ×3, first 2 shown]
	s_mov_b32 s6, 0x5040100
	ds_write2_b32 v2, v1, v0 offset0:10 offset1:11
	v_perm_b32 v0, v31, v45, s6
	v_perm_b32 v1, v62, v44, s6
	ds_write2_b32 v2, v1, v0 offset0:12 offset1:13
	v_perm_b32 v0, v64, v43, s6
	v_perm_b32 v1, v65, v42, s6
	ds_write2_b32 v2, v1, v0 offset0:14 offset1:15
	v_perm_b32 v0, v63, v46, s6
	ds_write_b32 v2, v0 offset:64
.LBB0_7:
	s_or_b64 exec, exec, s[0:1]
	s_movk_i32 s0, 0xf1
	v_mul_lo_u16_sdwa v0, v28, s0 dst_sel:DWORD dst_unused:UNUSED_PAD src0_sel:BYTE_0 src1_sel:DWORD
	v_lshrrev_b16_e32 v19, 12, v0
	v_mul_lo_u16_e32 v0, 17, v19
	v_sub_u16_e32 v0, v28, v0
	v_and_b32_e32 v23, 0xff, v0
	v_mad_u64_u32 v[0:1], s[0:1], v23, 12, s[2:3]
	s_mov_b64 s[0:1], 0xaa
	s_load_dwordx4 s[8:11], s[4:5], 0x0
	s_waitcnt lgkmcnt(0)
	s_barrier
	global_load_dwordx3 v[16:18], v[0:1], off
	v_lshl_add_u64 v[0:1], v[28:29], 0, s[0:1]
	s_mov_b32 s0, 0xf0f1
	v_mul_u32_u24_sdwa v36, v0, s0 dst_sel:DWORD dst_unused:UNUSED_PAD src0_sel:WORD_0 src1_sel:DWORD
	v_lshrrev_b32_e32 v27, 20, v36
	v_mul_lo_u16_e32 v1, 17, v27
	v_sub_u16_e32 v37, v0, v1
	v_mul_lo_u16_e32 v2, 12, v37
	v_mov_b32_e32 v3, 0
	v_lshl_add_u64 v[4:5], s[2:3], 0, v[2:3]
	s_mov_b64 s[4:5], 0x154
	global_load_dwordx3 v[20:22], v[4:5], off
	v_lshl_add_u64 v[4:5], v[28:29], 0, s[4:5]
	v_mul_u32_u24_sdwa v5, v4, s0 dst_sel:DWORD dst_unused:UNUSED_PAD src0_sel:WORD_0 src1_sel:DWORD
	v_lshrrev_b32_e32 v38, 20, v5
	v_mul_lo_u16_e32 v1, 17, v38
	v_sub_u16_e32 v39, v4, v1
	v_mul_lo_u16_e32 v2, 12, v39
	v_lshl_add_u64 v[6:7], s[2:3], 0, v[2:3]
	global_load_dwordx3 v[24:26], v[6:7], off
	v_mov_b32_e32 v1, 2
	v_lshlrev_b32_sdwa v33, v1, v28 dst_sel:DWORD dst_unused:UNUSED_PAD src0_sel:DWORD src1_sel:WORD_0
	v_add_u32_e32 v47, 0x400, v33
	ds_read2_b32 v[6:7], v33 offset1:170
	v_add_u32_e32 v1, 0xf00, v33
	v_add_u32_e32 v48, 0x1400, v33
	;; [unrolled: 1-line block ×4, first 2 shown]
	ds_read2_b32 v[8:9], v47 offset0:84 offset1:254
	ds_read2_b32 v[10:11], v1 offset0:60 offset1:230
	;; [unrolled: 1-line block ×5, first 2 shown]
	s_waitcnt lgkmcnt(4)
	v_lshrrev_b32_e32 v41, 16, v9
	s_waitcnt lgkmcnt(3)
	v_lshrrev_b32_e32 v51, 16, v10
	;; [unrolled: 2-line block ×3, first 2 shown]
	v_lshrrev_b32_e32 v2, 16, v6
	s_waitcnt lgkmcnt(1)
	v_lshrrev_b32_e32 v53, 16, v14
	v_lshrrev_b32_e32 v54, 16, v11
	s_waitcnt lgkmcnt(0)
	v_lshrrev_b32_e32 v55, 16, v34
	v_lshrrev_b32_e32 v57, 16, v15
	;; [unrolled: 1-line block ×5, first 2 shown]
	v_mul_u32_u24_e32 v19, 0x44, v19
	v_add_lshl_u32 v212, v19, v23, 2
	v_lshrrev_b32_e32 v56, 16, v8
	s_barrier
	s_movk_i32 s1, 0x44
	s_mov_b64 s[4:5], 0x1fe
	v_add_u32_e32 v92, 0x600, v33
	v_add_u32_e32 v93, 0xc00, v33
	;; [unrolled: 1-line block ×4, first 2 shown]
                                        ; implicit-def: $vgpr75
	s_waitcnt vmcnt(2)
	v_mul_f16_sdwa v60, v41, v16 dst_sel:DWORD dst_unused:UNUSED_PAD src0_sel:DWORD src1_sel:WORD_1
	v_mul_f16_sdwa v61, v9, v16 dst_sel:DWORD dst_unused:UNUSED_PAD src0_sel:DWORD src1_sel:WORD_1
	;; [unrolled: 1-line block ×6, first 2 shown]
	v_fma_f16 v9, v9, v16, -v60
	v_fma_f16 v41, v41, v16, v61
	v_fma_f16 v10, v10, v17, -v66
	v_fma_f16 v51, v51, v17, v67
	;; [unrolled: 2-line block ×3, first 2 shown]
	v_sub_f16_e32 v10, v6, v10
	v_sub_f16_e32 v51, v2, v51
	;; [unrolled: 1-line block ×4, first 2 shown]
	s_waitcnt vmcnt(1)
	v_mul_f16_sdwa v60, v53, v20 dst_sel:DWORD dst_unused:UNUSED_PAD src0_sel:DWORD src1_sel:WORD_1
	v_mul_f16_sdwa v61, v14, v20 dst_sel:DWORD dst_unused:UNUSED_PAD src0_sel:DWORD src1_sel:WORD_1
	;; [unrolled: 1-line block ×6, first 2 shown]
	v_fma_f16 v6, v6, 2.0, -v10
	v_fma_f16 v2, v2, 2.0, -v51
	;; [unrolled: 1-line block ×4, first 2 shown]
	v_fma_f16 v14, v14, v20, -v60
	v_fma_f16 v53, v53, v20, v61
	v_fma_f16 v11, v11, v21, -v66
	v_fma_f16 v54, v54, v21, v67
	;; [unrolled: 2-line block ×3, first 2 shown]
	s_waitcnt vmcnt(0)
	v_mul_f16_sdwa v60, v57, v24 dst_sel:DWORD dst_unused:UNUSED_PAD src0_sel:DWORD src1_sel:WORD_1
	v_sub_f16_e32 v9, v6, v9
	v_sub_f16_e32 v41, v2, v41
	;; [unrolled: 1-line block ×3, first 2 shown]
	v_add_f16_e32 v13, v51, v13
	v_mul_f16_sdwa v61, v15, v24 dst_sel:DWORD dst_unused:UNUSED_PAD src0_sel:DWORD src1_sel:WORD_1
	v_fma_f16 v15, v15, v24, -v60
	v_mul_f16_sdwa v60, v59, v26 dst_sel:DWORD dst_unused:UNUSED_PAD src0_sel:DWORD src1_sel:WORD_1
	v_fma_f16 v6, v6, 2.0, -v9
	v_fma_f16 v2, v2, 2.0, -v41
	;; [unrolled: 1-line block ×4, first 2 shown]
	v_sub_f16_e32 v11, v7, v11
	v_sub_f16_e32 v54, v40, v54
	;; [unrolled: 1-line block ×4, first 2 shown]
	v_mul_f16_sdwa v66, v58, v25 dst_sel:DWORD dst_unused:UNUSED_PAD src0_sel:DWORD src1_sel:WORD_1
	v_mul_f16_sdwa v67, v12, v25 dst_sel:DWORD dst_unused:UNUSED_PAD src0_sel:DWORD src1_sel:WORD_1
	v_fma_f16 v60, v35, v26, -v60
	v_mul_f16_sdwa v35, v35, v26 dst_sel:DWORD dst_unused:UNUSED_PAD src0_sel:DWORD src1_sel:WORD_1
	v_fma_f16 v7, v7, 2.0, -v11
	v_fma_f16 v40, v40, 2.0, -v54
	;; [unrolled: 1-line block ×4, first 2 shown]
	v_pack_b32_f16 v2, v6, v2
	v_pack_b32_f16 v6, v10, v51
	v_fma_f16 v57, v57, v24, v61
	v_fma_f16 v12, v12, v25, -v66
	v_fma_f16 v58, v58, v25, v67
	v_fma_f16 v35, v59, v26, v35
	v_sub_f16_e32 v14, v7, v14
	v_sub_f16_e32 v53, v40, v53
	;; [unrolled: 1-line block ×3, first 2 shown]
	v_add_f16_e32 v34, v54, v34
	ds_write2_b32 v212, v2, v6 offset1:17
	v_pack_b32_f16 v2, v9, v41
	v_pack_b32_f16 v6, v52, v13
	v_fma_f16 v7, v7, 2.0, -v14
	v_fma_f16 v40, v40, 2.0, -v53
	;; [unrolled: 1-line block ×4, first 2 shown]
	v_sub_f16_e32 v12, v8, v12
	v_sub_f16_e32 v58, v56, v58
	;; [unrolled: 1-line block ×4, first 2 shown]
	ds_write2_b32 v212, v2, v6 offset0:34 offset1:51
	v_mad_legacy_u16 v2, v27, s1, v37
	v_fma_f16 v8, v8, 2.0, -v12
	v_fma_f16 v56, v56, 2.0, -v58
	;; [unrolled: 1-line block ×4, first 2 shown]
	v_lshlrev_b32_e32 v213, 2, v2
	v_pack_b32_f16 v2, v7, v40
	v_pack_b32_f16 v6, v11, v54
	v_sub_f16_e32 v15, v8, v15
	v_sub_f16_e32 v57, v56, v57
	;; [unrolled: 1-line block ×3, first 2 shown]
	v_add_f16_e32 v59, v58, v59
	ds_write2_b32 v213, v2, v6 offset1:17
	v_pack_b32_f16 v2, v14, v53
	v_pack_b32_f16 v6, v55, v34
	v_fma_f16 v8, v8, 2.0, -v15
	v_fma_f16 v56, v56, 2.0, -v57
	;; [unrolled: 1-line block ×4, first 2 shown]
	ds_write2_b32 v213, v2, v6 offset0:34 offset1:51
	v_mad_legacy_u16 v2, v38, s1, v39
	v_lshlrev_b32_e32 v214, 2, v2
	v_pack_b32_f16 v2, v8, v56
	v_pack_b32_f16 v6, v12, v58
	ds_write2_b32 v214, v2, v6 offset1:17
	v_pack_b32_f16 v2, v15, v57
	v_pack_b32_f16 v6, v35, v59
	s_movk_i32 s1, 0x79
	ds_write2_b32 v214, v2, v6 offset0:34 offset1:51
	v_mul_lo_u16_sdwa v2, v28, s1 dst_sel:DWORD dst_unused:UNUSED_PAD src0_sel:BYTE_0 src1_sel:DWORD
	v_lshrrev_b16_e32 v14, 13, v2
	v_mul_lo_u16_e32 v2, 0x44, v14
	v_sub_u16_e32 v2, v28, v2
	v_and_b32_e32 v15, 0xff, v2
	v_lshlrev_b32_e32 v2, 3, v15
	v_lshrrev_b32_e32 v51, 22, v36
	s_waitcnt lgkmcnt(0)
	s_barrier
	global_load_dwordx2 v[34:35], v2, s[2:3] offset:204
	v_mul_lo_u16_e32 v2, 0x44, v51
	v_sub_u16_e32 v52, v0, v2
	v_lshlrev_b16_e32 v2, 3, v52
	v_lshrrev_b32_e32 v53, 22, v5
	v_lshl_add_u64 v[6:7], s[2:3], 0, v[2:3]
	v_mul_lo_u16_e32 v2, 0x44, v53
	v_sub_u16_e32 v54, v4, v2
	v_lshlrev_b16_e32 v2, 3, v54
	global_load_dwordx2 v[36:37], v[6:7], off offset:204
	v_lshl_add_u64 v[4:5], s[2:3], 0, v[2:3]
	global_load_dwordx2 v[38:39], v[4:5], off offset:204
	v_lshl_add_u64 v[4:5], v[28:29], 0, s[4:5]
	v_mul_u32_u24_sdwa v2, v4, s0 dst_sel:DWORD dst_unused:UNUSED_PAD src0_sel:WORD_0 src1_sel:DWORD
	v_lshrrev_b32_e32 v29, 22, v2
	v_mul_lo_u16_e32 v2, 0x44, v29
	v_sub_u16_e32 v55, v4, v2
	v_lshlrev_b16_e32 v2, 3, v55
	v_lshl_add_u64 v[2:3], s[2:3], 0, v[2:3]
	global_load_dwordx2 v[40:41], v[2:3], off offset:204
	ds_read2_b32 v[2:3], v33 offset1:170
	ds_read2_b32 v[4:5], v49 offset0:40 offset1:210
	ds_read2_b32 v[6:7], v48 offset0:80 offset1:250
	;; [unrolled: 1-line block ×5, first 2 shown]
	s_movk_i32 s0, 0x3aee
	s_waitcnt lgkmcnt(5)
	v_lshrrev_b32_e32 v48, 16, v2
	s_waitcnt lgkmcnt(4)
	v_lshrrev_b32_e32 v49, 16, v4
	;; [unrolled: 2-line block ×3, first 2 shown]
	v_lshrrev_b32_e32 v47, 16, v5
	v_lshrrev_b32_e32 v50, 16, v7
	s_waitcnt lgkmcnt(1)
	v_lshrrev_b32_e32 v59, 16, v10
	s_waitcnt lgkmcnt(0)
	v_lshrrev_b32_e32 v60, 16, v12
	v_lshrrev_b32_e32 v66, 16, v11
	;; [unrolled: 1-line block ×3, first 2 shown]
	s_mov_b32 s1, 0xbaee
	v_lshrrev_b32_e32 v57, 16, v3
	v_lshrrev_b32_e32 v58, 16, v8
	;; [unrolled: 1-line block ×3, first 2 shown]
	s_barrier
	s_waitcnt vmcnt(3)
	v_mul_f16_sdwa v68, v49, v34 dst_sel:DWORD dst_unused:UNUSED_PAD src0_sel:DWORD src1_sel:WORD_1
	v_fma_f16 v68, v4, v34, -v68
	v_mul_f16_sdwa v4, v4, v34 dst_sel:DWORD dst_unused:UNUSED_PAD src0_sel:DWORD src1_sel:WORD_1
	v_fma_f16 v4, v49, v34, v4
	v_mul_f16_sdwa v49, v56, v35 dst_sel:DWORD dst_unused:UNUSED_PAD src0_sel:DWORD src1_sel:WORD_1
	v_fma_f16 v49, v6, v35, -v49
	v_mul_f16_sdwa v6, v6, v35 dst_sel:DWORD dst_unused:UNUSED_PAD src0_sel:DWORD src1_sel:WORD_1
	v_fma_f16 v6, v56, v35, v6
	v_add_f16_e32 v69, v68, v49
	s_waitcnt vmcnt(2)
	v_mul_f16_sdwa v56, v47, v36 dst_sel:DWORD dst_unused:UNUSED_PAD src0_sel:DWORD src1_sel:WORD_1
	v_fma_f16 v56, v5, v36, -v56
	v_mul_f16_sdwa v5, v5, v36 dst_sel:DWORD dst_unused:UNUSED_PAD src0_sel:DWORD src1_sel:WORD_1
	v_fma_f16 v5, v47, v36, v5
	v_mul_f16_sdwa v47, v50, v37 dst_sel:DWORD dst_unused:UNUSED_PAD src0_sel:DWORD src1_sel:WORD_1
	v_fma_f16 v47, v7, v37, -v47
	v_mul_f16_sdwa v7, v7, v37 dst_sel:DWORD dst_unused:UNUSED_PAD src0_sel:DWORD src1_sel:WORD_1
	v_fma_f16 v7, v50, v37, v7
	s_waitcnt vmcnt(1)
	v_mul_f16_sdwa v50, v59, v38 dst_sel:DWORD dst_unused:UNUSED_PAD src0_sel:DWORD src1_sel:WORD_1
	v_fma_f16 v50, v10, v38, -v50
	v_mul_f16_sdwa v10, v10, v38 dst_sel:DWORD dst_unused:UNUSED_PAD src0_sel:DWORD src1_sel:WORD_1
	v_fma_f16 v10, v59, v38, v10
	v_mul_f16_sdwa v59, v60, v39 dst_sel:DWORD dst_unused:UNUSED_PAD src0_sel:DWORD src1_sel:WORD_1
	v_fma_f16 v59, v12, v39, -v59
	v_mul_f16_sdwa v12, v12, v39 dst_sel:DWORD dst_unused:UNUSED_PAD src0_sel:DWORD src1_sel:WORD_1
	v_fma_f16 v12, v60, v39, v12
	;; [unrolled: 9-line block ×3, first 2 shown]
	v_add_f16_e32 v67, v2, v68
	v_fma_f16 v2, v69, -0.5, v2
	v_sub_f16_e32 v69, v4, v6
	v_fma_f16 v70, v69, s0, v2
	v_fma_f16 v2, v69, s1, v2
	v_add_f16_e32 v69, v48, v4
	v_add_f16_e32 v4, v4, v6
	;; [unrolled: 1-line block ×4, first 2 shown]
	v_fma_f16 v4, v4, -0.5, v48
	v_sub_f16_e32 v6, v68, v49
	v_add_f16_e32 v49, v56, v47
	v_fma_f16 v48, v6, s1, v4
	v_fma_f16 v4, v6, s0, v4
	v_add_f16_e32 v6, v3, v56
	v_fma_f16 v3, v49, -0.5, v3
	v_sub_f16_e32 v49, v5, v7
	v_fma_f16 v68, v49, s0, v3
	v_fma_f16 v3, v49, s1, v3
	v_add_f16_e32 v49, v57, v5
	v_add_f16_e32 v5, v5, v7
	;; [unrolled: 1-line block ×3, first 2 shown]
	v_fma_f16 v5, v5, -0.5, v57
	v_sub_f16_e32 v7, v56, v47
	v_add_f16_e32 v56, v50, v59
	v_add_f16_e32 v6, v6, v47
	v_fma_f16 v47, v7, s1, v5
	v_fma_f16 v5, v7, s0, v5
	v_add_f16_e32 v7, v8, v50
	v_fma_f16 v8, v56, -0.5, v8
	v_sub_f16_e32 v56, v10, v12
	v_fma_f16 v73, v56, s0, v8
	v_fma_f16 v8, v56, s1, v8
	v_add_f16_e32 v56, v58, v10
	v_add_f16_e32 v10, v10, v12
	;; [unrolled: 1-line block ×3, first 2 shown]
	v_fma_f16 v10, v10, -0.5, v58
	v_sub_f16_e32 v12, v50, v59
	v_add_f16_e32 v56, v60, v66
	v_fma_f16 v50, v12, s1, v10
	v_fma_f16 v10, v12, s0, v10
	v_add_f16_e32 v12, v9, v60
	v_fma_f16 v9, v56, -0.5, v9
	v_sub_f16_e32 v57, v11, v13
	v_fma_f16 v56, v57, s0, v9
	v_fma_f16 v57, v57, s1, v9
	v_add_f16_e32 v9, v61, v11
	v_add_f16_e32 v11, v11, v13
	;; [unrolled: 1-line block ×3, first 2 shown]
	v_fma_f16 v11, v11, -0.5, v61
	v_sub_f16_e32 v13, v60, v66
	v_fma_f16 v71, v13, s1, v11
	v_fma_f16 v72, v13, s0, v11
	v_mul_u32_u24_e32 v11, 0xcc, v14
	s_movk_i32 s0, 0xcc
	v_add_lshl_u32 v215, v11, v15, 2
	v_pack_b32_f16 v2, v2, v4
	ds_write_b32 v215, v2 offset:544
	v_mad_legacy_u16 v2, v51, s0, v52
	v_pack_b32_f16 v11, v67, v69
	v_pack_b32_f16 v13, v70, v48
	v_lshlrev_b32_e32 v216, 2, v2
	v_pack_b32_f16 v2, v6, v49
	v_pack_b32_f16 v4, v68, v47
	ds_write2_b32 v215, v11, v13 offset1:68
	ds_write2_b32 v216, v2, v4 offset1:68
	v_pack_b32_f16 v2, v3, v5
	v_add_f16_e32 v7, v7, v59
	ds_write_b32 v216, v2 offset:544
	v_mad_legacy_u16 v2, v53, s0, v54
	v_lshlrev_b32_e32 v217, 2, v2
	v_pack_b32_f16 v2, v7, v74
	v_pack_b32_f16 v3, v73, v50
	ds_write2_b32 v217, v2, v3 offset1:68
	v_pack_b32_f16 v2, v8, v10
	v_add_f16_e32 v12, v12, v66
	ds_write_b32 v217, v2 offset:544
	v_mad_legacy_u16 v2, v29, s0, v55
	v_lshlrev_b32_e32 v218, 2, v2
	v_pack_b32_f16 v2, v12, v9
	v_pack_b32_f16 v3, v56, v71
	ds_write2_b32 v218, v2, v3 offset1:68
	v_pack_b32_f16 v2, v57, v72
	ds_write_b32 v218, v2 offset:544
	s_waitcnt lgkmcnt(0)
	s_barrier
	ds_read2_b32 v[48:49], v33 offset1:204
	ds_read2_b32 v[50:51], v92 offset0:24 offset1:228
	ds_read2_b32 v[52:53], v93 offset0:48 offset1:252
	;; [unrolled: 1-line block ×4, first 2 shown]
	v_cmp_gt_u16_e64 s[0:1], 34, v28
                                        ; implicit-def: $vgpr73
                                        ; implicit-def: $vgpr60
                                        ; implicit-def: $vgpr74
	s_and_saveexec_b64 s[4:5], s[0:1]
	s_cbranch_execz .LBB0_9
; %bb.8:
	v_add_u32_e32 v2, 0x200, v33
	ds_read2_b32 v[42:43], v1 offset0:26 offset1:230
	v_add_u32_e32 v1, 0x1500, v33
	ds_read2_b32 v[56:57], v2 offset0:42 offset1:246
	;; [unrolled: 2-line block ×4, first 2 shown]
	ds_read2_b32 v[60:61], v1 offset0:10 offset1:214
	s_waitcnt lgkmcnt(3)
	v_lshrrev_b32_e32 v71, 16, v56
	v_lshrrev_b32_e32 v72, 16, v57
	;; [unrolled: 1-line block ×3, first 2 shown]
	s_waitcnt lgkmcnt(1)
	v_lshrrev_b32_e32 v62, 16, v44
	v_lshrrev_b32_e32 v31, 16, v45
	;; [unrolled: 1-line block ×5, first 2 shown]
	s_waitcnt lgkmcnt(0)
	v_lshrrev_b32_e32 v74, 16, v60
	v_lshrrev_b32_e32 v75, 16, v61
.LBB0_9:
	s_or_b64 exec, exec, s[4:5]
	v_subrev_u32_e32 v1, 34, v28
	v_cndmask_b32_e64 v0, v1, v0, s[0:1]
	v_mad_u64_u32 v[2:3], s[4:5], v28, 36, s[2:3]
	v_mul_hi_i32_i24_e32 v1, 36, v0
	v_mul_i32_i24_e32 v0, 36, v0
	global_load_dwordx4 v[8:11], v[2:3], off offset:748
	global_load_dwordx4 v[12:15], v[2:3], off offset:764
	global_load_dword v70, v[2:3], off offset:780
	v_lshl_add_u64 v[76:77], s[2:3], 0, v[0:1]
	global_load_dwordx4 v[0:3], v[76:77], off offset:748
	global_load_dwordx4 v[4:7], v[76:77], off offset:764
	global_load_dword v29, v[76:77], off offset:780
	s_waitcnt lgkmcnt(4)
	v_lshrrev_b32_e32 v77, 16, v49
	s_waitcnt lgkmcnt(1)
	v_lshrrev_b32_e32 v82, 16, v54
	v_lshrrev_b32_e32 v78, 16, v50
	;; [unrolled: 1-line block ×4, first 2 shown]
	s_waitcnt lgkmcnt(0)
	v_lshrrev_b32_e32 v84, 16, v58
	v_lshrrev_b32_e32 v83, 16, v55
	s_movk_i32 s5, 0x3b9c
	s_mov_b32 s3, 0xbb9c
	s_movk_i32 s6, 0x38b4
	s_mov_b32 s2, 0xb8b4
	s_movk_i32 s4, 0x34f2
	v_lshrrev_b32_e32 v81, 16, v53
	v_lshrrev_b32_e32 v76, 16, v48
	;; [unrolled: 1-line block ×3, first 2 shown]
	s_movk_i32 s7, 0x3a79
	s_waitcnt vmcnt(5)
	v_mul_f16_sdwa v86, v77, v8 dst_sel:DWORD dst_unused:UNUSED_PAD src0_sel:DWORD src1_sel:WORD_1
	s_waitcnt vmcnt(4)
	v_mul_f16_sdwa v100, v82, v13 dst_sel:DWORD dst_unused:UNUSED_PAD src0_sel:DWORD src1_sel:WORD_1
	v_mul_f16_sdwa v87, v49, v8 dst_sel:DWORD dst_unused:UNUSED_PAD src0_sel:DWORD src1_sel:WORD_1
	;; [unrolled: 1-line block ×4, first 2 shown]
	v_fma_f16 v49, v49, v8, -v86
	v_fma_f16 v54, v54, v13, -v100
	s_waitcnt vmcnt(2)
	v_mul_f16_sdwa v86, v72, v0 dst_sel:DWORD dst_unused:UNUSED_PAD src0_sel:DWORD src1_sel:WORD_1
	s_waitcnt vmcnt(1)
	v_mul_f16_sdwa v100, v63, v5 dst_sel:DWORD dst_unused:UNUSED_PAD src0_sel:DWORD src1_sel:WORD_1
	v_mul_f16_sdwa v89, v50, v9 dst_sel:DWORD dst_unused:UNUSED_PAD src0_sel:DWORD src1_sel:WORD_1
	v_fma_f16 v77, v77, v8, v87
	v_fma_f16 v50, v50, v9, -v88
	v_fma_f16 v82, v82, v13, v101
	v_mul_f16_sdwa v87, v57, v0 dst_sel:DWORD dst_unused:UNUSED_PAD src0_sel:DWORD src1_sel:WORD_1
	v_mul_f16_sdwa v88, v62, v1 dst_sel:DWORD dst_unused:UNUSED_PAD src0_sel:DWORD src1_sel:WORD_1
	v_mul_f16_sdwa v101, v46, v5 dst_sel:DWORD dst_unused:UNUSED_PAD src0_sel:DWORD src1_sel:WORD_1
	v_fma_f16 v57, v57, v0, -v86
	v_fma_f16 v86, v46, v5, -v100
	v_mul_f16_sdwa v46, v74, v7 dst_sel:DWORD dst_unused:UNUSED_PAD src0_sel:DWORD src1_sel:WORD_1
	v_fma_f16 v78, v78, v9, v89
	v_mul_f16_sdwa v89, v44, v1 dst_sel:DWORD dst_unused:UNUSED_PAD src0_sel:DWORD src1_sel:WORD_1
	v_fma_f16 v44, v44, v1, -v88
	v_fma_f16 v88, v60, v7, -v46
	v_mul_f16_sdwa v46, v60, v7 dst_sel:DWORD dst_unused:UNUSED_PAD src0_sel:DWORD src1_sel:WORD_1
	v_fma_f16 v60, v74, v7, v46
	s_waitcnt vmcnt(0)
	v_mul_f16_sdwa v46, v75, v29 dst_sel:DWORD dst_unused:UNUSED_PAD src0_sel:DWORD src1_sel:WORD_1
	v_mul_f16_sdwa v96, v80, v11 dst_sel:DWORD dst_unused:UNUSED_PAD src0_sel:DWORD src1_sel:WORD_1
	v_fma_f16 v62, v62, v1, v89
	v_fma_f16 v89, v61, v29, -v46
	v_mul_f16_sdwa v46, v61, v29 dst_sel:DWORD dst_unused:UNUSED_PAD src0_sel:DWORD src1_sel:WORD_1
	v_mul_f16_sdwa v97, v52, v11 dst_sel:DWORD dst_unused:UNUSED_PAD src0_sel:DWORD src1_sel:WORD_1
	v_fma_f16 v52, v52, v11, -v96
	v_fma_f16 v61, v75, v29, v46
	v_add_f16_e32 v46, v48, v50
	v_mul_f16_sdwa v90, v79, v10 dst_sel:DWORD dst_unused:UNUSED_PAD src0_sel:DWORD src1_sel:WORD_1
	v_mul_f16_sdwa v104, v84, v15 dst_sel:DWORD dst_unused:UNUSED_PAD src0_sel:DWORD src1_sel:WORD_1
	v_add_f16_e32 v46, v46, v52
	v_mul_f16_sdwa v91, v51, v10 dst_sel:DWORD dst_unused:UNUSED_PAD src0_sel:DWORD src1_sel:WORD_1
	v_mul_f16_sdwa v102, v83, v14 dst_sel:DWORD dst_unused:UNUSED_PAD src0_sel:DWORD src1_sel:WORD_1
	;; [unrolled: 1-line block ×3, first 2 shown]
	v_fma_f16 v51, v51, v10, -v90
	v_fma_f16 v58, v58, v15, -v104
	v_mul_f16_sdwa v90, v31, v2 dst_sel:DWORD dst_unused:UNUSED_PAD src0_sel:DWORD src1_sel:WORD_1
	v_add_f16_e32 v46, v46, v54
	v_mul_f16_sdwa v103, v55, v14 dst_sel:DWORD dst_unused:UNUSED_PAD src0_sel:DWORD src1_sel:WORD_1
	v_fma_f16 v79, v79, v10, v91
	v_fma_f16 v55, v55, v14, -v102
	v_fma_f16 v84, v84, v15, v105
	v_mul_f16_sdwa v91, v45, v2 dst_sel:DWORD dst_unused:UNUSED_PAD src0_sel:DWORD src1_sel:WORD_1
	v_mul_f16_sdwa v102, v73, v6 dst_sel:DWORD dst_unused:UNUSED_PAD src0_sel:DWORD src1_sel:WORD_1
	v_fma_f16 v45, v45, v2, -v90
	v_add_f16_e32 v90, v46, v58
	v_add_f16_e32 v46, v52, v54
	v_fma_f16 v80, v80, v11, v97
	v_fma_f16 v83, v83, v14, v103
	v_mul_f16_sdwa v96, v65, v3 dst_sel:DWORD dst_unused:UNUSED_PAD src0_sel:DWORD src1_sel:WORD_1
	v_mul_f16_sdwa v103, v47, v6 dst_sel:DWORD dst_unused:UNUSED_PAD src0_sel:DWORD src1_sel:WORD_1
	v_fma_f16 v72, v72, v0, v87
	v_fma_f16 v87, v47, v6, -v102
	v_fma_f16 v46, v46, -0.5, v48
	v_sub_f16_e32 v47, v78, v84
	v_mul_f16_sdwa v97, v42, v3 dst_sel:DWORD dst_unused:UNUSED_PAD src0_sel:DWORD src1_sel:WORD_1
	v_fma_f16 v31, v31, v2, v91
	v_fma_f16 v42, v42, v3, -v96
	v_fma_f16 v74, v47, s5, v46
	v_sub_f16_e32 v75, v80, v82
	v_sub_f16_e32 v91, v50, v52
	;; [unrolled: 1-line block ×3, first 2 shown]
	v_fma_f16 v46, v47, s3, v46
	v_fma_f16 v74, v75, s6, v74
	v_add_f16_e32 v91, v91, v96
	v_fma_f16 v46, v75, s2, v46
	v_fma_f16 v96, v91, s4, v74
	;; [unrolled: 1-line block ×3, first 2 shown]
	v_add_f16_e32 v46, v50, v58
	v_fma_f16 v46, v46, -0.5, v48
	v_mul_f16_sdwa v98, v81, v12 dst_sel:DWORD dst_unused:UNUSED_PAD src0_sel:DWORD src1_sel:WORD_1
	v_fma_f16 v65, v65, v3, v97
	v_fma_f16 v48, v75, s3, v46
	v_sub_f16_e32 v74, v52, v50
	v_sub_f16_e32 v97, v54, v58
	v_fma_f16 v46, v75, s5, v46
	v_mul_f16_sdwa v99, v53, v12 dst_sel:DWORD dst_unused:UNUSED_PAD src0_sel:DWORD src1_sel:WORD_1
	v_fma_f16 v53, v53, v12, -v98
	v_mul_f16_sdwa v98, v64, v4 dst_sel:DWORD dst_unused:UNUSED_PAD src0_sel:DWORD src1_sel:WORD_1
	v_add_f16_e32 v74, v74, v97
	v_fma_f16 v46, v47, s2, v46
	v_fma_f16 v81, v81, v12, v99
	v_mul_f16_sdwa v99, v43, v4 dst_sel:DWORD dst_unused:UNUSED_PAD src0_sel:DWORD src1_sel:WORD_1
	v_fma_f16 v43, v43, v4, -v98
	v_fma_f16 v98, v74, s4, v46
	v_add_f16_e32 v46, v76, v78
	v_add_f16_e32 v46, v46, v80
	;; [unrolled: 1-line block ×3, first 2 shown]
	v_fma_f16 v64, v64, v4, v99
	v_add_f16_e32 v99, v46, v84
	v_add_f16_e32 v46, v80, v82
	v_fma_f16 v48, v47, s6, v48
	v_fma_f16 v46, v46, -0.5, v76
	v_sub_f16_e32 v47, v50, v58
	v_fma_f16 v97, v74, s4, v48
	v_fma_f16 v48, v47, s3, v46
	v_sub_f16_e32 v50, v52, v54
	v_sub_f16_e32 v52, v78, v80
	;; [unrolled: 1-line block ×3, first 2 shown]
	v_fma_f16 v46, v47, s5, v46
	v_add_f16_e32 v52, v52, v54
	v_fma_f16 v46, v50, s6, v46
	v_fma_f16 v100, v52, s4, v46
	v_add_f16_e32 v46, v78, v84
	v_fma_f16 v48, v50, s2, v48
	v_fma_f16 v46, v46, -0.5, v76
	v_fma_f16 v58, v52, s4, v48
	v_fma_f16 v48, v50, s5, v46
	v_sub_f16_e32 v52, v80, v78
	v_sub_f16_e32 v54, v82, v84
	v_fma_f16 v46, v50, s3, v46
	v_add_f16_e32 v52, v52, v54
	v_fma_f16 v46, v47, s6, v46
	v_fma_f16 v84, v52, s4, v46
	v_add_f16_e32 v46, v49, v51
	v_mul_f16_sdwa v106, v85, v70 dst_sel:DWORD dst_unused:UNUSED_PAD src0_sel:DWORD src1_sel:WORD_1
	v_add_f16_e32 v46, v46, v53
	v_mul_f16_sdwa v107, v59, v70 dst_sel:DWORD dst_unused:UNUSED_PAD src0_sel:DWORD src1_sel:WORD_1
	v_fma_f16 v59, v59, v70, -v106
	v_fma_f16 v48, v47, s2, v48
	v_add_f16_e32 v46, v46, v55
	v_fma_f16 v85, v85, v70, v107
	v_fma_f16 v82, v52, s4, v48
	v_add_f16_e32 v52, v46, v59
	v_add_f16_e32 v46, v53, v55
	v_fma_f16 v46, v46, -0.5, v49
	v_sub_f16_e32 v47, v79, v85
	v_fma_f16 v48, v47, s5, v46
	v_sub_f16_e32 v50, v81, v83
	v_sub_f16_e32 v54, v51, v53
	;; [unrolled: 1-line block ×3, first 2 shown]
	v_fma_f16 v46, v47, s3, v46
	v_fma_f16 v48, v50, s6, v48
	v_add_f16_e32 v54, v54, v74
	v_fma_f16 v46, v50, s2, v46
	v_fma_f16 v75, v54, s4, v48
	;; [unrolled: 1-line block ×3, first 2 shown]
	v_add_f16_e32 v46, v51, v59
	v_fma_f16 v46, v46, -0.5, v49
	v_fma_f16 v48, v50, s3, v46
	v_sub_f16_e32 v49, v53, v51
	v_sub_f16_e32 v74, v55, v59
	v_fma_f16 v46, v50, s5, v46
	v_add_f16_e32 v49, v49, v74
	v_fma_f16 v46, v47, s2, v46
	v_fma_f16 v78, v49, s4, v46
	v_add_f16_e32 v46, v77, v79
	v_add_f16_e32 v46, v46, v81
	v_add_f16_e32 v46, v46, v83
	v_add_f16_e32 v80, v46, v85
	v_add_f16_e32 v46, v81, v83
	v_fma_f16 v48, v47, s6, v48
	v_fma_f16 v46, v46, -0.5, v77
	v_sub_f16_e32 v47, v51, v59
	v_fma_f16 v76, v49, s4, v48
	v_fma_f16 v48, v47, s3, v46
	v_sub_f16_e32 v49, v53, v55
	v_sub_f16_e32 v50, v79, v81
	;; [unrolled: 1-line block ×3, first 2 shown]
	v_fma_f16 v46, v47, s5, v46
	v_add_f16_e32 v50, v50, v51
	v_fma_f16 v46, v49, s6, v46
	v_fma_f16 v53, v50, s4, v46
	v_add_f16_e32 v46, v79, v85
	v_fma_f16 v48, v49, s2, v48
	v_fma_f16 v46, v46, -0.5, v77
	v_fma_f16 v51, v50, s4, v48
	v_fma_f16 v48, v49, s5, v46
	;; [unrolled: 1-line block ×4, first 2 shown]
	v_sub_f16_e32 v50, v81, v79
	v_sub_f16_e32 v55, v83, v85
	v_fma_f16 v46, v47, s6, v46
	v_mul_f16_e32 v47, 0x38b4, v51
	v_add_f16_e32 v50, v50, v55
	v_fma_f16 v79, v75, s7, v47
	v_mul_f16_e32 v75, 0xb8b4, v75
	v_fma_f16 v63, v63, v5, v101
	v_fma_f16 v55, v50, s4, v48
	;; [unrolled: 1-line block ×4, first 2 shown]
	v_mul_f16_e32 v51, 0xbb9c, v76
	v_mul_f16_e32 v49, 0x34f2, v78
	v_fma_f16 v102, v55, s4, v51
	v_mul_f16_e32 v51, 0x34f2, v59
	v_fma_f16 v83, v59, s5, -v49
	v_fma_f16 v59, v78, s3, -v51
	v_mul_f16_e32 v51, 0x3a79, v53
	v_fma_f16 v73, v73, v6, v103
	v_add_f16_e32 v46, v90, v52
	v_add_f16_e32 v47, v96, v79
	;; [unrolled: 1-line block ×4, first 2 shown]
	v_fma_f16 v103, v54, s2, -v51
	v_sub_f16_e32 v51, v90, v52
	v_sub_f16_e32 v52, v96, v79
	;; [unrolled: 1-line block ×4, first 2 shown]
	v_add_f16_e32 v58, v56, v44
	v_add_f16_e32 v58, v58, v42
	v_mul_f16_e32 v48, 0x3b9c, v55
	v_add_f16_e32 v58, v58, v86
	v_fma_f16 v81, v76, s4, v48
	v_mul_f16_e32 v50, 0x3a79, v54
	v_add_f16_e32 v90, v58, v88
	v_add_f16_e32 v58, v42, v86
	;; [unrolled: 1-line block ×3, first 2 shown]
	v_fma_f16 v85, v53, s6, -v50
	v_add_f16_e32 v76, v82, v102
	v_add_f16_e32 v77, v84, v59
	v_sub_f16_e32 v53, v97, v81
	v_sub_f16_e32 v81, v82, v102
	;; [unrolled: 1-line block ×3, first 2 shown]
	v_fma_f16 v58, v58, -0.5, v56
	v_sub_f16_e32 v59, v62, v60
	v_add_f16_e32 v50, v91, v85
	v_sub_f16_e32 v55, v91, v85
	v_fma_f16 v84, v59, s5, v58
	v_sub_f16_e32 v85, v65, v63
	v_sub_f16_e32 v91, v44, v42
	;; [unrolled: 1-line block ×3, first 2 shown]
	v_fma_f16 v58, v59, s3, v58
	v_add_f16_e32 v91, v91, v96
	v_fma_f16 v58, v85, s2, v58
	v_fma_f16 v97, v91, s4, v58
	v_add_f16_e32 v58, v44, v88
	v_fma_f16 v84, v85, s6, v84
	v_fma_f16 v56, v58, -0.5, v56
	v_fma_f16 v96, v91, s4, v84
	v_fma_f16 v58, v85, s3, v56
	v_sub_f16_e32 v84, v42, v44
	v_sub_f16_e32 v91, v86, v88
	v_fma_f16 v56, v85, s5, v56
	v_add_f16_e32 v84, v84, v91
	v_fma_f16 v56, v59, s2, v56
	v_fma_f16 v99, v84, s4, v56
	v_add_f16_e32 v56, v71, v62
	v_add_f16_e32 v56, v56, v65
	;; [unrolled: 1-line block ×5, first 2 shown]
	v_sub_f16_e32 v54, v98, v83
	v_sub_f16_e32 v83, v100, v103
	v_add_f16_e32 v100, v56, v60
	v_add_f16_e32 v56, v65, v63
	v_fma_f16 v58, v59, s6, v58
	v_fma_f16 v56, v56, -0.5, v71
	v_sub_f16_e32 v44, v44, v88
	v_fma_f16 v98, v84, s4, v58
	v_fma_f16 v58, v44, s3, v56
	v_sub_f16_e32 v42, v42, v86
	v_sub_f16_e32 v59, v62, v65
	;; [unrolled: 1-line block ×3, first 2 shown]
	v_fma_f16 v56, v44, s5, v56
	v_add_f16_e32 v59, v59, v84
	v_fma_f16 v56, v42, s6, v56
	v_fma_f16 v102, v59, s4, v56
	v_add_f16_e32 v56, v62, v60
	v_fma_f16 v58, v42, s2, v58
	v_fma_f16 v56, v56, -0.5, v71
	v_fma_f16 v101, v59, s4, v58
	v_fma_f16 v58, v42, s5, v56
	v_sub_f16_e32 v59, v65, v62
	v_sub_f16_e32 v60, v63, v60
	v_fma_f16 v58, v44, s2, v58
	v_add_f16_e32 v59, v59, v60
	v_fma_f16 v42, v42, s3, v56
	v_add_f16_e32 v56, v43, v87
	v_fma_f16 v62, v59, s4, v58
	v_fma_f16 v42, v44, s6, v42
	v_fma_f16 v56, v56, -0.5, v57
	v_sub_f16_e32 v58, v31, v61
	v_fma_f16 v42, v59, s4, v42
	v_fma_f16 v59, v58, s5, v56
	v_sub_f16_e32 v60, v64, v73
	v_sub_f16_e32 v63, v45, v43
	;; [unrolled: 1-line block ×3, first 2 shown]
	v_fma_f16 v56, v58, s3, v56
	v_fma_f16 v59, v60, s6, v59
	v_add_f16_e32 v63, v63, v65
	v_fma_f16 v56, v60, s2, v56
	v_fma_f16 v65, v63, s4, v59
	;; [unrolled: 1-line block ×3, first 2 shown]
	v_add_f16_e32 v56, v45, v89
	v_fma_f16 v56, v56, -0.5, v57
	v_add_f16_e32 v44, v57, v45
	v_fma_f16 v57, v60, s3, v56
	v_sub_f16_e32 v59, v43, v45
	v_sub_f16_e32 v71, v87, v89
	v_fma_f16 v56, v60, s5, v56
	v_add_f16_e32 v59, v59, v71
	v_fma_f16 v56, v58, s2, v56
	v_fma_f16 v88, v59, s4, v56
	v_add_f16_e32 v56, v72, v31
	v_add_f16_e32 v56, v56, v64
	;; [unrolled: 1-line block ×5, first 2 shown]
	v_fma_f16 v57, v58, s6, v57
	v_fma_f16 v56, v56, -0.5, v72
	v_sub_f16_e32 v45, v45, v89
	v_add_f16_e32 v44, v44, v43
	v_fma_f16 v71, v59, s4, v57
	v_fma_f16 v57, v45, s3, v56
	v_sub_f16_e32 v43, v43, v87
	v_sub_f16_e32 v58, v31, v64
	;; [unrolled: 1-line block ×3, first 2 shown]
	v_fma_f16 v56, v45, s5, v56
	v_add_f16_e32 v44, v44, v87
	v_add_f16_e32 v58, v58, v59
	v_fma_f16 v56, v43, s6, v56
	v_add_f16_e32 v44, v44, v89
	v_fma_f16 v89, v58, s4, v56
	;; [unrolled: 2-line block ×3, first 2 shown]
	v_fma_f16 v56, v56, -0.5, v72
	v_fma_f16 v85, v58, s4, v57
	v_fma_f16 v57, v43, s5, v56
	v_sub_f16_e32 v31, v64, v31
	v_sub_f16_e32 v58, v73, v61
	v_fma_f16 v43, v43, s3, v56
	v_fma_f16 v57, v45, s2, v57
	v_add_f16_e32 v31, v31, v58
	v_fma_f16 v43, v45, s6, v43
	v_fma_f16 v61, v31, s4, v57
	;; [unrolled: 1-line block ×3, first 2 shown]
	v_mul_f16_e32 v59, 0x34f2, v88
	v_fma_f16 v64, v31, s5, -v59
	v_mul_f16_e32 v31, 0x34f2, v31
	v_fma_f16 v31, v88, s3, -v31
	v_mul_f16_e32 v45, 0x3b9c, v61
	v_add_f16_e32 v87, v42, v31
	v_sub_f16_e32 v73, v42, v31
	v_pack_b32_f16 v31, v46, v74
	v_pack_b32_f16 v42, v47, v75
	v_mul_f16_e32 v43, 0x38b4, v85
	v_fma_f16 v45, v71, s4, v45
	v_mul_f16_e32 v71, 0xbb9c, v71
	ds_write2_b32 v33, v31, v42 offset1:204
	v_pack_b32_f16 v31, v48, v76
	v_pack_b32_f16 v42, v49, v77
	v_fma_f16 v43, v65, s7, v43
	v_mul_f16_e32 v60, 0x3a79, v63
	v_mul_f16_e32 v65, 0xb8b4, v65
	v_fma_f16 v71, v61, s4, v71
	v_mul_f16_e32 v61, 0x3a79, v89
	ds_write2_b32 v92, v31, v42 offset0:24 offset1:228
	v_pack_b32_f16 v31, v50, v78
	v_pack_b32_f16 v42, v51, v79
	v_fma_f16 v72, v89, s6, -v60
	v_fma_f16 v65, v85, s7, v65
	v_fma_f16 v63, v63, s2, -v61
	ds_write2_b32 v93, v31, v42 offset0:48 offset1:252
	v_pack_b32_f16 v31, v52, v80
	v_pack_b32_f16 v42, v53, v81
	v_add_f16_e32 v56, v90, v44
	v_add_f16_e32 v57, v96, v43
	v_add_f16_e32 v58, v98, v45
	v_add_f16_e32 v59, v99, v64
	v_add_f16_e32 v60, v97, v72
	v_add_f16_e32 v84, v100, v103
	v_add_f16_e32 v85, v101, v65
	v_add_f16_e32 v86, v62, v71
	v_add_f16_e32 v88, v102, v63
	v_sub_f16_e32 v61, v90, v44
	v_sub_f16_e32 v91, v96, v43
	;; [unrolled: 1-line block ×9, first 2 shown]
	ds_write2_b32 v94, v31, v42 offset0:8 offset1:212
	v_pack_b32_f16 v31, v54, v82
	v_pack_b32_f16 v42, v55, v83
	ds_write2_b32 v95, v31, v42 offset0:32 offset1:236
	s_and_saveexec_b64 s[2:3], s[0:1]
	s_cbranch_execz .LBB0_11
; %bb.10:
	s_mov_b32 s4, 0x5040100
	v_perm_b32 v31, v84, v56, s4
	v_perm_b32 v42, v85, v57, s4
	v_add_u32_e32 v62, 0x200, v33
	ds_write2_b32 v62, v31, v42 offset0:42 offset1:246
	v_perm_b32 v31, v86, v58, s4
	v_perm_b32 v42, v87, v59, s4
	v_add_u32_e32 v62, 0x900, v33
	ds_write2_b32 v62, v31, v42 offset0:2 offset1:206
	;; [unrolled: 4-line block ×5, first 2 shown]
.LBB0_11:
	s_or_b64 exec, exec, s[2:3]
	s_waitcnt lgkmcnt(0)
	s_barrier
	s_and_saveexec_b64 s[4:5], vcc
	s_cbranch_execz .LBB0_13
; %bb.12:
	s_add_u32 s6, s12, 0x1fe0
	s_addc_u32 s7, s13, 0
	global_load_dword v42, v30, s[6:7]
	global_load_dword v98, v30, s[6:7] offset:480
	global_load_dword v99, v30, s[6:7] offset:960
	global_load_dword v100, v30, s[6:7] offset:1440
	global_load_dword v101, v30, s[6:7] offset:1920
	global_load_dword v102, v30, s[6:7] offset:2400
	global_load_dword v103, v30, s[6:7] offset:2880
	global_load_dword v104, v30, s[6:7] offset:3360
	global_load_dword v105, v30, s[6:7] offset:3840
	v_mov_b32_e32 v31, 0
	s_movk_i32 s2, 0x1000
	v_lshl_add_u64 v[62:63], s[6:7], 0, v[30:31]
	v_add_co_u32_e64 v62, s[2:3], s2, v62
	ds_read_b32 v64, v33
	s_nop 0
	v_addc_co_u32_e64 v63, s[2:3], 0, v63, s[2:3]
	global_load_dword v31, v[62:63], off offset:224
	global_load_dword v109, v[62:63], off offset:704
	v_or_b32_e32 v65, 0x1e00, v30
	global_load_dword v111, v[62:63], off offset:1184
	global_load_dword v112, v[62:63], off offset:1664
	;; [unrolled: 1-line block ×5, first 2 shown]
	global_load_dword v116, v65, s[6:7]
	s_waitcnt lgkmcnt(0)
	v_lshrrev_b32_e32 v62, 16, v64
	v_add_u32_e32 v106, 0x400, v30
	v_add_u32_e32 v107, 0x800, v30
	;; [unrolled: 1-line block ×4, first 2 shown]
	s_waitcnt vmcnt(16)
	v_mul_f16_sdwa v63, v62, v42 dst_sel:DWORD dst_unused:UNUSED_PAD src0_sel:DWORD src1_sel:WORD_1
	v_mul_f16_sdwa v65, v64, v42 dst_sel:DWORD dst_unused:UNUSED_PAD src0_sel:DWORD src1_sel:WORD_1
	v_fma_f16 v63, v64, v42, -v63
	v_fma_f16 v42, v62, v42, v65
	v_pack_b32_f16 v42, v63, v42
	ds_write_b32 v33, v42
	ds_read2_b32 v[62:63], v30 offset0:120 offset1:240
	ds_read2_b32 v[64:65], v106 offset0:104 offset1:224
	;; [unrolled: 1-line block ×5, first 2 shown]
	s_waitcnt lgkmcnt(4)
	v_lshrrev_b32_e32 v42, 16, v62
	s_waitcnt vmcnt(15)
	v_mul_f16_sdwa v117, v62, v98 dst_sel:DWORD dst_unused:UNUSED_PAD src0_sel:DWORD src1_sel:WORD_1
	v_lshrrev_b32_e32 v118, 16, v63
	s_waitcnt vmcnt(14)
	v_mul_f16_sdwa v119, v63, v99 dst_sel:DWORD dst_unused:UNUSED_PAD src0_sel:DWORD src1_sel:WORD_1
	s_waitcnt lgkmcnt(3)
	v_lshrrev_b32_e32 v120, 16, v64
	s_waitcnt vmcnt(13)
	v_mul_f16_sdwa v121, v64, v100 dst_sel:DWORD dst_unused:UNUSED_PAD src0_sel:DWORD src1_sel:WORD_1
	v_lshrrev_b32_e32 v122, 16, v65
	s_waitcnt vmcnt(12)
	v_mul_f16_sdwa v123, v65, v101 dst_sel:DWORD dst_unused:UNUSED_PAD src0_sel:DWORD src1_sel:WORD_1
	;; [unrolled: 7-line block ×3, first 2 shown]
	s_waitcnt lgkmcnt(1)
	v_lshrrev_b32_e32 v128, 16, v94
	s_waitcnt vmcnt(9)
	v_mul_f16_sdwa v129, v94, v104 dst_sel:DWORD dst_unused:UNUSED_PAD src0_sel:DWORD src1_sel:WORD_1
	v_lshrrev_b32_e32 v130, 16, v95
	v_mul_f16_sdwa v132, v42, v98 dst_sel:DWORD dst_unused:UNUSED_PAD src0_sel:DWORD src1_sel:WORD_1
	v_fma_f16 v42, v42, v98, v117
	v_mul_f16_sdwa v117, v118, v99 dst_sel:DWORD dst_unused:UNUSED_PAD src0_sel:DWORD src1_sel:WORD_1
	s_waitcnt vmcnt(8)
	v_mul_f16_sdwa v131, v95, v105 dst_sel:DWORD dst_unused:UNUSED_PAD src0_sel:DWORD src1_sel:WORD_1
	v_fma_f16 v118, v118, v99, v119
	v_mul_f16_sdwa v119, v120, v100 dst_sel:DWORD dst_unused:UNUSED_PAD src0_sel:DWORD src1_sel:WORD_1
	v_fma_f16 v120, v120, v100, v121
	;; [unrolled: 2-line block ×6, first 2 shown]
	v_mul_f16_sdwa v129, v130, v105 dst_sel:DWORD dst_unused:UNUSED_PAD src0_sel:DWORD src1_sel:WORD_1
	v_fma_f16 v62, v62, v98, -v132
	v_fma_f16 v63, v63, v99, -v117
	v_fma_f16 v130, v130, v105, v131
	v_fma_f16 v64, v64, v100, -v119
	v_fma_f16 v65, v65, v101, -v121
	;; [unrolled: 1-line block ×6, first 2 shown]
	v_pack_b32_f16 v42, v62, v42
	v_pack_b32_f16 v62, v63, v118
	;; [unrolled: 1-line block ×8, first 2 shown]
	ds_write2_b32 v30, v42, v62 offset0:120 offset1:240
	ds_write2_b32 v106, v63, v64 offset0:104 offset1:224
	;; [unrolled: 1-line block ×4, first 2 shown]
	s_waitcnt lgkmcnt(4)
	v_lshrrev_b32_e32 v42, 16, v96
	s_waitcnt vmcnt(7)
	v_mul_f16_sdwa v62, v42, v31 dst_sel:DWORD dst_unused:UNUSED_PAD src0_sel:DWORD src1_sel:WORD_1
	v_mul_f16_sdwa v63, v96, v31 dst_sel:DWORD dst_unused:UNUSED_PAD src0_sel:DWORD src1_sel:WORD_1
	v_fma_f16 v62, v96, v31, -v62
	v_fma_f16 v31, v42, v31, v63
	v_lshrrev_b32_e32 v42, 16, v97
	v_pack_b32_f16 v31, v62, v31
	s_waitcnt vmcnt(6)
	v_mul_f16_sdwa v62, v42, v109 dst_sel:DWORD dst_unused:UNUSED_PAD src0_sel:DWORD src1_sel:WORD_1
	v_add_u32_e32 v92, 0x1400, v30
	v_fma_f16 v64, v97, v109, -v62
	ds_read2_b32 v[62:63], v92 offset0:40 offset1:160
	v_mul_f16_sdwa v65, v97, v109 dst_sel:DWORD dst_unused:UNUSED_PAD src0_sel:DWORD src1_sel:WORD_1
	v_fma_f16 v42, v42, v109, v65
	v_pack_b32_f16 v42, v64, v42
	ds_write2_b32 v110, v31, v42 offset0:56 offset1:176
	s_waitcnt lgkmcnt(1)
	v_lshrrev_b32_e32 v31, 16, v62
	s_waitcnt vmcnt(5)
	v_mul_f16_sdwa v42, v31, v111 dst_sel:DWORD dst_unused:UNUSED_PAD src0_sel:DWORD src1_sel:WORD_1
	v_fma_f16 v42, v62, v111, -v42
	v_mul_f16_sdwa v62, v62, v111 dst_sel:DWORD dst_unused:UNUSED_PAD src0_sel:DWORD src1_sel:WORD_1
	v_fma_f16 v31, v31, v111, v62
	v_add_u32_e32 v93, 0x1800, v30
	v_pack_b32_f16 v31, v42, v31
	v_lshrrev_b32_e32 v42, 16, v63
	ds_read2_b32 v[64:65], v93 offset0:24 offset1:144
	s_waitcnt vmcnt(4)
	v_mul_f16_sdwa v62, v42, v112 dst_sel:DWORD dst_unused:UNUSED_PAD src0_sel:DWORD src1_sel:WORD_1
	v_fma_f16 v62, v63, v112, -v62
	v_mul_f16_sdwa v63, v63, v112 dst_sel:DWORD dst_unused:UNUSED_PAD src0_sel:DWORD src1_sel:WORD_1
	v_fma_f16 v42, v42, v112, v63
	v_pack_b32_f16 v42, v62, v42
	ds_write2_b32 v92, v31, v42 offset0:40 offset1:160
	s_waitcnt lgkmcnt(1)
	v_lshrrev_b32_e32 v31, 16, v64
	s_waitcnt vmcnt(3)
	v_mul_f16_sdwa v42, v31, v113 dst_sel:DWORD dst_unused:UNUSED_PAD src0_sel:DWORD src1_sel:WORD_1
	v_mul_f16_sdwa v62, v64, v113 dst_sel:DWORD dst_unused:UNUSED_PAD src0_sel:DWORD src1_sel:WORD_1
	v_fma_f16 v42, v64, v113, -v42
	v_fma_f16 v31, v31, v113, v62
	v_pack_b32_f16 v31, v42, v31
	v_lshrrev_b32_e32 v42, 16, v65
	s_waitcnt vmcnt(2)
	v_mul_f16_sdwa v62, v42, v114 dst_sel:DWORD dst_unused:UNUSED_PAD src0_sel:DWORD src1_sel:WORD_1
	v_add_u32_e32 v92, 0x1c00, v30
	v_fma_f16 v64, v65, v114, -v62
	ds_read2_b32 v[62:63], v92 offset0:8 offset1:128
	v_mul_f16_sdwa v65, v65, v114 dst_sel:DWORD dst_unused:UNUSED_PAD src0_sel:DWORD src1_sel:WORD_1
	v_fma_f16 v42, v42, v114, v65
	v_pack_b32_f16 v42, v64, v42
	ds_write2_b32 v93, v31, v42 offset0:24 offset1:144
	s_waitcnt lgkmcnt(1)
	v_lshrrev_b32_e32 v31, 16, v62
	s_waitcnt vmcnt(1)
	v_mul_f16_sdwa v42, v31, v115 dst_sel:DWORD dst_unused:UNUSED_PAD src0_sel:DWORD src1_sel:WORD_1
	v_fma_f16 v42, v62, v115, -v42
	v_mul_f16_sdwa v62, v62, v115 dst_sel:DWORD dst_unused:UNUSED_PAD src0_sel:DWORD src1_sel:WORD_1
	v_fma_f16 v31, v31, v115, v62
	v_pack_b32_f16 v31, v42, v31
	v_lshrrev_b32_e32 v42, 16, v63
	s_waitcnt vmcnt(0)
	v_mul_f16_sdwa v62, v42, v116 dst_sel:DWORD dst_unused:UNUSED_PAD src0_sel:DWORD src1_sel:WORD_1
	v_fma_f16 v62, v63, v116, -v62
	v_mul_f16_sdwa v63, v63, v116 dst_sel:DWORD dst_unused:UNUSED_PAD src0_sel:DWORD src1_sel:WORD_1
	v_fma_f16 v42, v42, v116, v63
	v_pack_b32_f16 v42, v62, v42
	ds_write2_b32 v92, v31, v42 offset0:8 offset1:128
.LBB0_13:
	s_or_b64 exec, exec, s[4:5]
	s_waitcnt lgkmcnt(0)
	s_barrier
	s_and_saveexec_b64 s[2:3], vcc
	s_cbranch_execz .LBB0_15
; %bb.14:
	v_add_u32_e32 v31, 0x200, v33
	ds_read2_b32 v[48:49], v31 offset0:112 offset1:232
	v_add_u32_e32 v31, 0x600, v33
	ds_read2_b32 v[50:51], v31 offset0:96 offset1:216
	;; [unrolled: 2-line block ×6, first 2 shown]
	v_add_u32_e32 v31, 0x1a00, v33
	ds_read2_b32 v[46:47], v33 offset1:120
	ds_read2_b32 v[60:61], v31 offset0:16 offset1:136
	ds_read_b32 v91, v33 offset:7680
	s_waitcnt lgkmcnt(8)
	v_lshrrev_b32_e32 v76, 16, v48
	v_lshrrev_b32_e32 v77, 16, v49
	s_waitcnt lgkmcnt(2)
	v_lshrrev_b32_e32 v74, 16, v46
	v_lshrrev_b32_e32 v75, 16, v47
	;; [unrolled: 1-line block ×12, first 2 shown]
	s_waitcnt lgkmcnt(1)
	v_lshrrev_b32_e32 v88, 16, v60
	v_lshrrev_b32_e32 v89, 16, v61
	s_waitcnt lgkmcnt(0)
	v_lshrrev_b32_e32 v90, 16, v91
.LBB0_15:
	s_or_b64 exec, exec, s[2:3]
	v_sub_f16_e32 v179, v75, v90
	v_add_f16_e32 v118, v91, v47
	v_add_f16_e32 v126, v90, v75
	s_movk_i32 s4, 0x3b76
	v_mul_f16_e32 v96, 0xb5c8, v179
	v_sub_f16_e32 v191, v76, v89
	v_sub_f16_e32 v186, v47, v91
	s_mov_b32 s2, 0xb5c8
	v_mul_f16_e32 v97, 0x3b76, v126
	v_fma_f16 v31, v118, s4, -v96
	s_movk_i32 s5, 0x39e9
	v_add_f16_e32 v133, v61, v48
	v_add_f16_e32 v141, v89, v76
	v_mul_f16_e32 v99, 0xb964, v191
	v_add_f16_e32 v31, v46, v31
	v_fma_f16 v42, v186, s2, v97
	s_mov_b32 s3, 0xb964
	v_sub_f16_e32 v195, v48, v61
	v_mul_f16_e32 v101, 0x39e9, v141
	v_fma_f16 v102, v133, s5, -v99
	v_add_f16_e32 v42, v74, v42
	v_mul_f16_e32 v98, 0xb964, v179
	v_add_f16_e32 v31, v102, v31
	v_fma_f16 v102, v195, s3, v101
	v_mul_f16_e32 v100, 0x39e9, v126
	v_fma_f16 v62, v118, s5, -v98
	s_movk_i32 s7, 0x2de8
	v_add_f16_e32 v42, v102, v42
	v_mul_f16_e32 v102, 0xbbf7, v191
	v_add_f16_e32 v62, v46, v62
	v_fma_f16 v63, v186, s3, v100
	s_movk_i32 s6, 0x3722
	v_mul_f16_e32 v104, 0xbb29, v179
	s_mov_b32 s20, 0xbbf7
	v_mul_f16_e32 v105, 0x2de8, v141
	v_fma_f16 v103, v133, s7, -v102
	v_add_f16_e32 v63, v74, v63
	s_mov_b32 s21, 0xbb29
	v_mul_f16_e32 v107, 0x3722, v126
	v_fma_f16 v64, v118, s6, -v104
	v_add_f16_e32 v62, v103, v62
	v_fma_f16 v103, v195, s20, v105
	s_mov_b32 s18, 0xb8d2
	v_mul_f16_e32 v110, 0xba62, v191
	v_add_f16_e32 v64, v46, v64
	v_fma_f16 v65, v186, s21, v107
	v_mul_f16_e32 v111, 0xbbf7, v179
	v_add_f16_e32 v63, v103, v63
	s_mov_b32 s3, 0xba62
	v_mul_f16_e32 v114, 0xb8d2, v141
	v_fma_f16 v103, v133, s18, -v110
	v_add_f16_e32 v65, v74, v65
	v_mul_f16_e32 v115, 0x2de8, v126
	v_fma_f16 v92, v118, s7, -v111
	v_add_f16_e32 v64, v103, v64
	v_fma_f16 v103, v195, s3, v114
	s_mov_b32 s17, 0xbbdd
	v_mul_f16_e32 v120, 0xb1e1, v191
	v_add_f16_e32 v92, v46, v92
	v_fma_f16 v93, v186, s20, v115
	s_mov_b32 s16, 0xb461
	v_mul_f16_e32 v121, 0xbbb2, v179
	v_add_f16_e32 v65, v103, v65
	s_mov_b32 s23, 0xb1e1
	v_mul_f16_e32 v125, 0xbbdd, v141
	v_fma_f16 v103, v133, s17, -v120
	v_add_f16_e32 v93, v74, v93
	s_mov_b32 s22, 0xbbb2
	v_mul_f16_e32 v127, 0xb461, v126
	v_fma_f16 v94, v118, s16, -v121
	v_add_f16_e32 v92, v103, v92
	v_fma_f16 v103, v195, s23, v125
	s_mov_b32 s19, 0xbacd
	v_mul_f16_e32 v134, 0x3836, v191
	v_add_f16_e32 v94, v46, v94
	v_fma_f16 v95, v186, s22, v127
	v_add_f16_e32 v93, v103, v93
	s_movk_i32 s24, 0x3836
	v_mul_f16_e32 v139, 0xbacd, v141
	v_fma_f16 v103, v133, s19, -v134
	v_add_f16_e32 v95, v74, v95
	v_add_f16_e32 v94, v103, v94
	v_fma_f16 v103, v195, s24, v139
	v_sub_f16_e32 v198, v77, v88
	v_add_f16_e32 v95, v103, v95
	v_add_f16_e32 v147, v60, v49
	;; [unrolled: 1-line block ×3, first 2 shown]
	v_mul_f16_e32 v103, 0xbb29, v198
	v_sub_f16_e32 v202, v49, v60
	v_mul_f16_e32 v106, 0x3722, v153
	v_fma_f16 v108, v147, s6, -v103
	v_add_f16_e32 v31, v108, v31
	v_fma_f16 v108, v202, s21, v106
	v_mul_f16_e32 v109, 0xba62, v198
	v_add_f16_e32 v42, v108, v42
	v_mul_f16_e32 v113, 0xb8d2, v153
	v_fma_f16 v108, v147, s18, -v109
	v_add_f16_e32 v62, v108, v62
	v_fma_f16 v108, v202, s3, v113
	v_mul_f16_e32 v119, 0x31e1, v198
	v_add_f16_e32 v63, v108, v63
	s_movk_i32 s25, 0x31e1
	v_mul_f16_e32 v124, 0xbbdd, v153
	v_fma_f16 v108, v147, s17, -v119
	v_add_f16_e32 v64, v108, v64
	v_fma_f16 v108, v202, s25, v124
	v_mul_f16_e32 v131, 0x3bb2, v198
	v_add_f16_e32 v65, v108, v65
	s_movk_i32 s25, 0x3bb2
	;; [unrolled: 7-line block ×3, first 2 shown]
	v_mul_f16_e32 v151, 0x39e9, v153
	v_fma_f16 v108, v147, s5, -v145
	v_add_f16_e32 v94, v108, v94
	v_fma_f16 v108, v202, s26, v151
	v_sub_f16_e32 v206, v78, v87
	v_add_f16_e32 v95, v108, v95
	v_add_f16_e32 v159, v59, v50
	v_add_f16_e32 v164, v87, v78
	v_mul_f16_e32 v108, 0xbbf7, v206
	v_sub_f16_e32 v207, v50, v59
	v_mul_f16_e32 v112, 0x2de8, v164
	v_fma_f16 v116, v159, s7, -v108
	v_add_f16_e32 v31, v116, v31
	v_fma_f16 v116, v207, s20, v112
	v_mul_f16_e32 v117, 0xb1e1, v206
	v_add_f16_e32 v42, v116, v42
	v_mul_f16_e32 v123, 0xbbdd, v164
	v_fma_f16 v116, v159, s17, -v117
	v_add_f16_e32 v62, v116, v62
	v_fma_f16 v116, v207, s23, v123
	v_mul_f16_e32 v130, 0x3bb2, v206
	v_add_f16_e32 v63, v116, v63
	;; [unrolled: 6-line block ×3, first 2 shown]
	s_movk_i32 s27, 0x35c8
	v_mul_f16_e32 v149, 0x3b76, v164
	v_fma_f16 v116, v159, s4, -v143
	v_add_f16_e32 v92, v116, v92
	v_fma_f16 v116, v207, s27, v149
	v_mul_f16_e32 v157, 0xbb29, v206
	v_add_f16_e32 v93, v116, v93
	v_mul_f16_e32 v162, 0x3722, v164
	v_fma_f16 v116, v159, s6, -v157
	v_add_f16_e32 v94, v116, v94
	v_fma_f16 v116, v207, s21, v162
	v_sub_f16_e32 v208, v79, v86
	v_add_f16_e32 v95, v116, v95
	v_add_f16_e32 v170, v58, v51
	v_add_f16_e32 v177, v86, v79
	v_mul_f16_e32 v116, 0xbbb2, v208
	v_sub_f16_e32 v205, v51, v58
	v_mul_f16_e32 v122, 0xb461, v177
	v_fma_f16 v128, v170, s16, -v116
	v_add_f16_e32 v31, v128, v31
	v_fma_f16 v128, v205, s22, v122
	v_mul_f16_e32 v129, 0x3836, v208
	v_add_f16_e32 v42, v128, v42
	v_mul_f16_e32 v135, 0xbacd, v177
	v_fma_f16 v128, v170, s19, -v129
	v_add_f16_e32 v62, v128, v62
	v_fma_f16 v128, v205, s24, v135
	v_mul_f16_e32 v142, 0x3964, v208
	v_add_f16_e32 v63, v128, v63
	;; [unrolled: 6-line block ×4, first 2 shown]
	v_mul_f16_e32 v175, 0xbbdd, v177
	v_fma_f16 v128, v170, s17, -v167
	v_add_f16_e32 v94, v128, v94
	v_fma_f16 v128, v205, s23, v175
	v_sub_f16_e32 v209, v80, v85
	v_add_f16_e32 v95, v128, v95
	v_add_f16_e32 v182, v57, v52
	v_add_f16_e32 v187, v85, v80
	v_mul_f16_e32 v128, 0xba62, v209
	v_sub_f16_e32 v203, v52, v57
	v_mul_f16_e32 v132, 0xb8d2, v187
	v_fma_f16 v138, v182, s18, -v128
	v_add_f16_e32 v31, v138, v31
	v_fma_f16 v138, v203, s3, v132
	v_mul_f16_e32 v140, 0x3bb2, v209
	v_add_f16_e32 v42, v138, v42
	v_mul_f16_e32 v146, 0xb461, v187
	v_fma_f16 v138, v182, s16, -v140
	v_add_f16_e32 v62, v138, v62
	v_fma_f16 v138, v203, s25, v146
	v_mul_f16_e32 v154, 0xb5c8, v209
	v_add_f16_e32 v63, v138, v63
	;; [unrolled: 6-line block ×3, first 2 shown]
	s_mov_b32 s21, 0xb836
	v_mul_f16_e32 v173, 0xbacd, v187
	v_fma_f16 v138, v182, s19, -v166
	v_add_f16_e32 v92, v138, v92
	v_fma_f16 v138, v203, s21, v173
	v_mul_f16_e32 v181, 0x3bf7, v209
	v_add_f16_e32 v93, v138, v93
	s_movk_i32 s22, 0x3bf7
	v_mul_f16_e32 v185, 0x2de8, v187
	v_fma_f16 v138, v182, s7, -v181
	v_add_f16_e32 v94, v138, v94
	v_fma_f16 v138, v203, s22, v185
	v_sub_f16_e32 v210, v81, v84
	v_add_f16_e32 v95, v138, v95
	v_add_f16_e32 v190, v56, v53
	;; [unrolled: 1-line block ×3, first 2 shown]
	v_mul_f16_e32 v138, 0xb836, v210
	v_sub_f16_e32 v201, v53, v56
	v_mul_f16_e32 v144, 0xbacd, v194
	v_fma_f16 v150, v190, s19, -v138
	v_add_f16_e32 v31, v150, v31
	v_fma_f16 v150, v201, s21, v144
	v_mul_f16_e32 v152, 0x3b29, v210
	v_add_f16_e32 v163, v150, v42
	s_movk_i32 s22, 0x3b29
	v_mul_f16_e32 v158, 0x3722, v194
	v_fma_f16 v42, v190, s6, -v152
	v_add_f16_e32 v62, v42, v62
	v_fma_f16 v42, v201, s22, v158
	v_mul_f16_e32 v165, 0xbbf7, v210
	v_add_f16_e32 v168, v42, v63
	v_mul_f16_e32 v171, 0x2de8, v194
	v_fma_f16 v42, v190, s7, -v165
	v_add_f16_e32 v64, v42, v64
	v_fma_f16 v42, v201, s20, v171
	v_mul_f16_e32 v180, 0x3a62, v210
	v_add_f16_e32 v65, v42, v65
	s_movk_i32 s20, 0x3a62
	v_mul_f16_e32 v184, 0xb8d2, v194
	v_fma_f16 v42, v190, s18, -v180
	v_add_f16_e32 v172, v42, v92
	v_fma_f16 v42, v201, s20, v184
	v_mul_f16_e32 v189, 0xb5c8, v210
	v_add_f16_e32 v174, v42, v93
	v_mul_f16_e32 v193, 0x3b76, v194
	v_fma_f16 v42, v190, s4, -v189
	v_sub_f16_e32 v211, v82, v83
	v_add_f16_e32 v94, v42, v94
	v_fma_f16 v42, v201, s2, v193
	v_add_f16_e32 v197, v55, v54
	v_add_f16_e32 v200, v83, v82
	v_mul_f16_e32 v150, 0xb1e1, v211
	v_add_f16_e32 v176, v42, v95
	v_sub_f16_e32 v204, v54, v55
	v_mul_f16_e32 v156, 0xbbdd, v200
	v_fma_f16 v42, v197, s17, -v150
	v_add_f16_e32 v42, v42, v31
	v_fma_f16 v31, v204, s23, v156
	v_add_f16_e32 v93, v31, v163
	v_mul_f16_e32 v163, 0x35c8, v211
	v_mul_f16_e32 v169, 0x3b76, v200
	v_fma_f16 v31, v197, s4, -v163
	v_add_f16_e32 v63, v31, v62
	v_fma_f16 v31, v204, s27, v169
	v_mul_f16_e32 v178, 0xb836, v211
	v_add_f16_e32 v92, v31, v168
	v_mul_f16_e32 v183, 0xbacd, v200
	v_fma_f16 v31, v197, s19, -v178
	v_add_f16_e32 v62, v31, v64
	v_fma_f16 v31, v204, s21, v183
	v_mul_f16_e32 v188, 0x3964, v211
	v_mul_f16_e32 v196, 0xba62, v211
	v_add_f16_e32 v95, v31, v65
	v_mul_f16_e32 v192, 0x39e9, v200
	v_fma_f16 v31, v197, s5, -v188
	v_mul_f16_e32 v199, 0xb8d2, v200
	v_fma_f16 v64, v197, s18, -v196
	v_add_f16_e32 v65, v31, v172
	v_fma_f16 v31, v204, s26, v192
	v_add_f16_e32 v64, v64, v94
	v_fma_f16 v94, v204, s3, v199
	v_add_f16_e32 v31, v31, v174
	v_add_f16_e32 v94, v94, v176
	s_barrier
	s_and_saveexec_b64 s[2:3], vcc
	s_cbranch_execz .LBB0_17
; %bb.16:
	v_mul_f16_e32 v19, 0x3b76, v118
	v_accvgpr_write_b32 a7, v19
	v_mul_f16_e32 v19, 0xb5c8, v186
	v_accvgpr_write_b32 a10, v19
	;; [unrolled: 2-line block ×12, first 2 shown]
	v_mul_f16_e32 v19, 0xba62, v195
	v_mul_f16_e32 v251, 0xba62, v186
	v_accvgpr_write_b32 a34, v19
	v_mul_f16_e32 v19, 0x3722, v147
	v_fma_f16 v252, v126, s18, v251
	v_mul_f16_e32 v253, 0x3bb2, v195
	v_accvgpr_write_b32 a9, v19
	v_mul_f16_e32 v19, 0xbb29, v202
	v_add_f16_e32 v252, v74, v252
	v_fma_f16 v254, v141, s16, v253
	v_accvgpr_write_b32 a14, v19
	v_mul_f16_e32 v19, 0xb8d2, v147
	v_add_f16_e32 v252, v254, v252
	v_mul_f16_e32 v254, 0xb5c8, v202
	v_accvgpr_write_b32 a20, v19
	v_mul_f16_e32 v19, 0xba62, v202
	v_fma_f16 v255, v153, s4, v254
	v_accvgpr_write_b32 a26, v19
	v_mul_f16_e32 v19, 0xbbdd, v147
	v_add_f16_e32 v252, v255, v252
	v_mul_f16_e32 v255, 0xb836, v207
	v_accvgpr_write_b32 a30, v19
	v_mul_f16_e32 v19, 0x31e1, v202
	;; [unrolled: 7-line block ×6, first 2 shown]
	v_fma_f16 v238, v200, s6, v176
	v_accvgpr_write_b32 a25, v19
	v_add_f16_e32 v19, v238, v168
	v_mul_f16_e32 v238, 0xba62, v179
	v_accvgpr_write_b32 a16, v19
	v_fma_f16 v220, v118, s18, -v238
	v_mul_f16_e32 v19, 0x3bb2, v191
	v_add_f16_e32 v220, v46, v220
	v_fma_f16 v229, v133, s16, -v19
	v_add_f16_e32 v220, v229, v220
	v_mul_f16_e32 v229, 0xb5c8, v198
	v_accvgpr_write_b32 a0, v212
	v_fma_f16 v212, v147, s4, -v229
	v_add_f16_e32 v212, v212, v220
	v_mul_f16_e32 v220, 0xb836, v206
	v_fma_f16 v168, v159, s19, -v220
	v_add_f16_e32 v168, v168, v212
	v_mul_f16_e32 v212, 0x3bf7, v208
	;; [unrolled: 3-line block ×6, first 2 shown]
	v_accvgpr_write_b32 a1, v213
	v_fma_f16 v213, v126, s19, v230
	v_mul_f16_e32 v248, 0x3b29, v195
	v_add_f16_e32 v213, v74, v213
	v_fma_f16 v240, v141, s6, v248
	v_add_f16_e32 v213, v240, v213
	v_mul_f16_e32 v240, 0xbbf7, v202
	v_accvgpr_write_b32 a24, v23
	v_fma_f16 v23, v153, s7, v240
	v_add_f16_e32 v23, v23, v213
	v_mul_f16_e32 v213, 0x3a62, v207
	v_fma_f16 v27, v164, s18, v213
	v_add_f16_e32 v23, v27, v23
	v_mul_f16_e32 v27, 0xb5c8, v205
	;; [unrolled: 3-line block ×6, first 2 shown]
	v_accvgpr_write_b32 a2, v214
	v_fma_f16 v214, v118, s19, -v231
	v_mul_f16_e32 v66, 0x3b29, v191
	v_add_f16_e32 v214, v46, v214
	v_fma_f16 v67, v133, s6, -v66
	v_add_f16_e32 v67, v67, v214
	v_mul_f16_e32 v214, 0xbbf7, v198
	v_fma_f16 v68, v147, s7, -v214
	v_add_f16_e32 v67, v68, v67
	v_mul_f16_e32 v68, 0x3a62, v206
	;; [unrolled: 3-line block ×6, first 2 shown]
	v_accvgpr_write_b32 a32, v23
	v_fma_f16 v23, v197, s16, -v232
	v_add_f16_e32 v23, v23, v67
	v_mul_f16_e32 v67, 0xb1e1, v186
	v_accvgpr_write_b32 a5, v217
	v_mul_f16_e32 v217, 0xbbf7, v186
	v_mul_f16_e32 v219, 0xbbb2, v186
	;; [unrolled: 1-line block ×4, first 2 shown]
	v_fma_f16 v186, v126, s17, v67
	v_mul_f16_e32 v195, 0x35c8, v195
	v_mul_f16_e32 v235, 0x3bb2, v202
	;; [unrolled: 1-line block ×3, first 2 shown]
	v_add_f16_e32 v186, v74, v186
	v_accvgpr_write_b32 a3, v215
	v_fma_f16 v215, v141, s4, v195
	v_mul_f16_e32 v202, 0xb836, v202
	v_mul_f16_e32 v243, 0x3bb2, v207
	;; [unrolled: 1-line block ×4, first 2 shown]
	v_add_f16_e32 v186, v215, v186
	v_fma_f16 v215, v153, s19, v202
	v_mul_f16_e32 v207, 0x3964, v207
	v_add_f16_e32 v186, v215, v186
	v_fma_f16 v215, v164, s5, v207
	v_add_f16_e32 v186, v215, v186
	v_mul_f16_e32 v215, 0xba62, v205
	v_fma_f16 v242, v177, s18, v215
	v_add_f16_e32 v186, v242, v186
	v_mul_f16_e32 v242, 0x3b29, v203
	;; [unrolled: 3-line block ×4, first 2 shown]
	v_accvgpr_write_b32 a4, v216
	v_fma_f16 v216, v200, s7, v233
	v_mul_f16_e32 v179, 0xb1e1, v179
	v_add_f16_e32 v186, v216, v186
	v_fma_f16 v216, v118, s17, -v179
	v_mul_f16_e32 v191, 0x35c8, v191
	v_fma_f16 v179, v118, s17, v179
	v_accvgpr_write_b32 a37, v23
	v_add_f16_e32 v216, v46, v216
	v_fma_f16 v23, v133, s4, -v191
	v_mul_f16_e32 v198, 0xb836, v198
	v_fma_f16 v67, v126, s17, -v67
	v_add_f16_e32 v179, v46, v179
	v_fma_f16 v191, v133, s4, v191
	v_add_f16_e32 v23, v23, v216
	v_fma_f16 v216, v147, s19, -v198
	v_mul_f16_e32 v206, 0x3964, v206
	v_add_f16_e32 v67, v74, v67
	v_fma_f16 v195, v141, s4, -v195
	v_add_f16_e32 v179, v191, v179
	v_fma_f16 v198, v147, s19, v198
	v_add_f16_e32 v23, v216, v23
	v_fma_f16 v216, v159, s5, -v206
	v_mul_f16_e32 v208, 0xba62, v208
	v_add_f16_e32 v67, v195, v67
	v_fma_f16 v202, v153, s19, -v202
	v_add_f16_e32 v179, v198, v179
	v_fma_f16 v206, v159, s5, v206
	v_sub_f16_e32 v115, v115, v217
	v_add_f16_e32 v23, v216, v23
	v_fma_f16 v216, v170, s18, -v208
	v_mul_f16_e32 v209, 0x3b29, v209
	v_add_f16_e32 v67, v202, v67
	v_fma_f16 v207, v164, s5, -v207
	v_add_f16_e32 v179, v206, v179
	v_fma_f16 v208, v170, s18, v208
	v_add_f16_e32 v115, v74, v115
	v_sub_f16_e32 v125, v125, v226
	v_add_f16_e32 v23, v216, v23
	v_fma_f16 v216, v182, s6, -v209
	v_mul_f16_e32 v210, 0xbbb2, v210
	v_add_f16_e32 v67, v207, v67
	v_fma_f16 v215, v177, s18, -v215
	v_add_f16_e32 v179, v208, v179
	v_fma_f16 v209, v182, s6, v209
	v_add_f16_e32 v115, v125, v115
	v_sub_f16_e32 v125, v137, v235
	v_add_f16_e32 v23, v216, v23
	v_fma_f16 v216, v190, s16, -v210
	v_add_f16_e32 v67, v215, v67
	v_mul_f16_e32 v215, 0xbb29, v205
	v_add_f16_e32 v179, v209, v179
	v_fma_f16 v210, v190, s16, v210
	v_fma_f16 v231, v118, s19, v231
	v_add_f16_e32 v115, v125, v115
	v_sub_f16_e32 v125, v149, v245
	v_add_f16_e32 v179, v210, v179
	v_mul_f16_e32 v210, 0xb836, v203
	v_fma_f16 v230, v126, s19, -v230
	v_add_f16_e32 v231, v46, v231
	v_fma_f16 v66, v133, s6, v66
	v_fma_f16 v126, v126, s18, -v251
	v_add_f16_e32 v115, v125, v115
	v_sub_f16_e32 v125, v161, v215
	v_fma_f16 v248, v141, s6, -v248
	v_add_f16_e32 v66, v66, v231
	v_mul_f16_e32 v231, 0x3a62, v201
	v_fma_f16 v141, v141, s16, -v253
	v_add_f16_e32 v126, v74, v126
	v_add_f16_e32 v115, v125, v115
	v_sub_f16_e32 v125, v173, v210
	v_add_f16_e32 v126, v141, v126
	v_mul_f16_e32 v141, 0x3964, v204
	v_add_f16_e32 v115, v125, v115
	v_sub_f16_e32 v125, v184, v231
	v_add_f16_e32 v230, v74, v230
	v_add_f16_e32 v115, v125, v115
	v_sub_f16_e32 v125, v192, v141
	v_add_f16_e32 v230, v248, v230
	v_fma_f16 v240, v153, s7, -v240
	v_add_f16_e32 v115, v125, v115
	v_accvgpr_read_b32 v125, a36
	v_mul_f16_e32 v225, 0xbbdd, v133
	v_add_f16_e32 v230, v240, v230
	v_fma_f16 v213, v164, s18, -v213
	v_add_f16_e32 v111, v125, v111
	v_mul_f16_e32 v234, 0xb461, v147
	v_add_f16_e32 v213, v213, v230
	v_fma_f16 v27, v177, s4, -v27
	v_add_f16_e32 v111, v46, v111
	v_add_f16_e32 v120, v225, v120
	v_mul_f16_e32 v244, 0x3b76, v159
	v_add_f16_e32 v27, v27, v213
	v_fma_f16 v222, v187, s17, -v222
	v_add_f16_e32 v111, v120, v111
	;; [unrolled: 5-line block ×4, first 2 shown]
	v_add_f16_e32 v120, v207, v155
	v_add_f16_e32 v27, v250, v27
	v_mul_f16_e32 v250, 0xb8d2, v190
	v_add_f16_e32 v111, v120, v111
	v_add_f16_e32 v120, v209, v166
	v_mul_f16_e32 v253, 0x39e9, v197
	v_add_f16_e32 v111, v120, v111
	v_add_f16_e32 v120, v250, v180
	;; [unrolled: 1-line block ×5, first 2 shown]
	v_accvgpr_read_b32 v120, a31
	v_sub_f16_e32 v107, v107, v120
	v_accvgpr_read_b32 v120, a34
	v_add_f16_e32 v107, v74, v107
	v_sub_f16_e32 v114, v114, v120
	v_add_f16_e32 v107, v114, v107
	v_accvgpr_read_b32 v114, a35
	v_sub_f16_e32 v114, v124, v114
	v_mul_f16_e32 v202, 0x3964, v205
	v_add_f16_e32 v107, v114, v107
	v_sub_f16_e32 v114, v136, v243
	v_mul_f16_e32 v208, 0xb5c8, v203
	v_add_f16_e32 v107, v114, v107
	;; [unrolled: 3-line block ×4, first 2 shown]
	v_sub_f16_e32 v114, v171, v168
	v_add_f16_e32 v107, v114, v107
	v_sub_f16_e32 v114, v183, v251
	v_add_f16_e32 v107, v114, v107
	v_accvgpr_read_b32 v114, a27
	v_add_f16_e32 v104, v114, v104
	v_accvgpr_read_b32 v114, a29
	v_add_f16_e32 v104, v46, v104
	v_add_f16_e32 v110, v114, v110
	v_fma_f16 v214, v147, s7, v214
	v_add_f16_e32 v104, v110, v104
	v_accvgpr_read_b32 v110, a30
	v_add_f16_e32 v66, v214, v66
	v_fma_f16 v68, v159, s18, v68
	v_add_f16_e32 v110, v110, v119
	v_add_f16_e32 v66, v68, v66
	v_fma_f16 v69, v170, s4, v69
	v_add_f16_e32 v104, v110, v104
	v_accvgpr_read_b32 v110, a33
	v_mul_f16_e32 v195, 0x39e9, v170
	v_add_f16_e32 v66, v69, v66
	v_fma_f16 v241, v182, s17, v241
	v_add_f16_e32 v110, v110, v130
	v_mul_f16_e32 v206, 0x3b76, v182
	v_add_f16_e32 v66, v241, v66
	v_fma_f16 v223, v190, s5, v223
	v_add_f16_e32 v104, v110, v104
	v_add_f16_e32 v110, v195, v142
	v_mul_f16_e32 v222, 0x2de8, v190
	v_add_f16_e32 v66, v223, v66
	v_fma_f16 v232, v197, s16, v232
	v_add_f16_e32 v104, v110, v104
	v_add_f16_e32 v110, v206, v154
	v_add_f16_e32 v66, v232, v66
	v_mul_f16_e32 v232, 0xbacd, v197
	v_add_f16_e32 v104, v110, v104
	v_add_f16_e32 v110, v222, v165
	;; [unrolled: 1-line block ×5, first 2 shown]
	v_accvgpr_read_b32 v110, a21
	v_sub_f16_e32 v100, v100, v110
	v_accvgpr_read_b32 v110, a23
	v_add_f16_e32 v100, v74, v100
	v_sub_f16_e32 v105, v105, v110
	v_add_f16_e32 v100, v105, v100
	v_accvgpr_read_b32 v105, a26
	v_mul_f16_e32 v211, 0x3bf7, v211
	v_sub_f16_e32 v105, v113, v105
	v_add_f16_e32 v23, v216, v23
	v_fma_f16 v216, v197, s7, -v211
	v_add_f16_e32 v100, v105, v100
	v_accvgpr_read_b32 v105, a28
	v_add_f16_e32 v23, v216, v23
	v_mul_f16_e32 v216, 0x3836, v205
	v_sub_f16_e32 v105, v123, v105
	v_mul_f16_e32 v198, 0x3bb2, v203
	v_add_f16_e32 v100, v105, v100
	v_sub_f16_e32 v105, v135, v216
	v_mul_f16_e32 v213, 0x3b29, v201
	v_add_f16_e32 v100, v105, v100
	;; [unrolled: 3-line block ×3, first 2 shown]
	v_sub_f16_e32 v105, v158, v213
	v_add_f16_e32 v100, v105, v100
	v_sub_f16_e32 v105, v169, v223
	v_add_f16_e32 v100, v105, v100
	v_accvgpr_read_b32 v105, a15
	v_add_f16_e32 v98, v105, v98
	v_accvgpr_read_b32 v105, a18
	v_add_f16_e32 v98, v46, v98
	v_add_f16_e32 v102, v105, v102
	;; [unrolled: 1-line block ×3, first 2 shown]
	v_accvgpr_read_b32 v102, a20
	v_add_f16_e32 v102, v102, v109
	v_add_f16_e32 v98, v102, v98
	v_accvgpr_read_b32 v102, a22
	v_add_f16_e32 v102, v102, v117
	v_add_f16_e32 v98, v102, v98
	v_accvgpr_read_b32 v102, a25
	v_mul_f16_e32 v191, 0xb461, v182
	v_add_f16_e32 v102, v102, v129
	v_mul_f16_e32 v230, 0x3722, v190
	v_add_f16_e32 v98, v102, v98
	v_add_f16_e32 v102, v191, v140
	v_mul_f16_e32 v241, 0x3b76, v197
	v_add_f16_e32 v98, v102, v98
	v_add_f16_e32 v102, v230, v152
	;; [unrolled: 1-line block ×5, first 2 shown]
	v_accvgpr_read_b32 v102, a10
	v_sub_f16_e32 v97, v97, v102
	v_accvgpr_read_b32 v102, a12
	v_add_f16_e32 v97, v74, v97
	v_sub_f16_e32 v101, v101, v102
	v_add_f16_e32 v97, v101, v97
	v_accvgpr_read_b32 v101, a14
	v_sub_f16_e32 v101, v106, v101
	v_fma_f16 v242, v187, s6, -v242
	v_add_f16_e32 v97, v101, v97
	v_accvgpr_read_b32 v101, a17
	v_add_f16_e32 v67, v242, v67
	v_fma_f16 v224, v194, s16, -v224
	v_sub_f16_e32 v101, v112, v101
	v_add_f16_e32 v67, v224, v67
	v_fma_f16 v233, v200, s7, -v233
	v_add_f16_e32 v97, v101, v97
	v_accvgpr_read_b32 v101, a19
	v_accvgpr_write_b32 a6, v218
	v_mul_f16_e32 v218, 0xb461, v118
	v_add_f16_e32 v67, v233, v67
	v_mul_f16_e32 v233, 0xba62, v203
	v_fma_f16 v118, v118, s18, v238
	v_sub_f16_e32 v101, v122, v101
	v_mul_f16_e32 v240, 0xb836, v201
	v_add_f16_e32 v118, v46, v118
	v_fma_f16 v19, v133, s16, v19
	v_add_f16_e32 v97, v101, v97
	v_sub_f16_e32 v101, v132, v233
	v_mul_f16_e32 v69, 0xb1e1, v204
	v_add_f16_e32 v19, v19, v118
	v_fma_f16 v118, v147, s4, v229
	v_add_f16_e32 v97, v101, v97
	v_sub_f16_e32 v101, v144, v240
	v_add_f16_e32 v19, v118, v19
	v_fma_f16 v118, v159, s19, v220
	v_add_f16_e32 v97, v101, v97
	v_sub_f16_e32 v69, v156, v69
	v_add_f16_e32 v19, v118, v19
	v_fma_f16 v118, v170, s7, v212
	v_add_f16_e32 v69, v69, v97
	v_accvgpr_read_b32 v97, a7
	v_add_f16_e32 v19, v118, v19
	v_fma_f16 v118, v182, s5, v239
	v_add_f16_e32 v121, v218, v121
	v_add_f16_e32 v96, v97, v96
	;; [unrolled: 1-line block ×3, first 2 shown]
	v_fma_f16 v118, v190, s17, v221
	v_add_f16_e32 v121, v46, v121
	v_add_f16_e32 v96, v46, v96
	v_add_f16_e32 v46, v47, v46
	v_add_f16_e32 v47, v75, v74
	v_add_f16_e32 v19, v118, v19
	v_fma_f16 v118, v197, s6, v249
	v_add_f16_e32 v46, v48, v46
	v_add_f16_e32 v47, v76, v47
	;; [unrolled: 1-line block ×3, first 2 shown]
	v_sub_f16_e32 v118, v127, v219
	v_add_f16_e32 v46, v49, v46
	v_add_f16_e32 v47, v77, v47
	;; [unrolled: 1-line block ×3, first 2 shown]
	v_sub_f16_e32 v127, v139, v228
	v_add_f16_e32 v46, v50, v46
	v_add_f16_e32 v47, v78, v47
	v_fma_f16 v153, v153, s4, -v254
	v_add_f16_e32 v118, v127, v118
	v_sub_f16_e32 v127, v151, v237
	v_accvgpr_read_b32 v97, a8
	v_add_f16_e32 v46, v51, v46
	v_add_f16_e32 v47, v79, v47
	v_mul_f16_e32 v205, 0xb1e1, v205
	v_add_f16_e32 v126, v153, v126
	v_fma_f16 v153, v164, s19, -v255
	v_add_f16_e32 v118, v127, v118
	v_sub_f16_e32 v127, v162, v247
	v_add_f16_e32 v97, v97, v99
	v_add_f16_e32 v46, v52, v46
	;; [unrolled: 1-line block ×3, first 2 shown]
	v_mul_f16_e32 v203, 0x3bf7, v203
	v_add_f16_e32 v126, v153, v126
	v_fma_f16 v153, v177, s7, -v252
	v_add_f16_e32 v118, v127, v118
	v_sub_f16_e32 v127, v175, v205
	v_add_f16_e32 v96, v97, v96
	v_accvgpr_read_b32 v97, a9
	v_add_f16_e32 v46, v53, v46
	v_add_f16_e32 v47, v81, v47
	v_mul_f16_e32 v201, 0xb5c8, v201
	v_add_f16_e32 v126, v153, v126
	v_fma_f16 v153, v187, s5, -v172
	v_add_f16_e32 v118, v127, v118
	v_sub_f16_e32 v127, v185, v203
	v_add_f16_e32 v97, v97, v103
	v_add_f16_e32 v46, v54, v46
	;; [unrolled: 1-line block ×3, first 2 shown]
	v_mul_f16_e32 v204, 0xba62, v204
	v_add_f16_e32 v126, v153, v126
	v_fma_f16 v153, v194, s17, -v174
	v_add_f16_e32 v118, v127, v118
	v_sub_f16_e32 v127, v193, v201
	v_add_f16_e32 v96, v97, v96
	v_accvgpr_read_b32 v97, a11
	v_add_f16_e32 v46, v55, v46
	v_add_f16_e32 v47, v83, v47
	v_mul_f16_e32 v227, 0xbacd, v133
	v_add_f16_e32 v126, v153, v126
	v_fma_f16 v153, v200, s6, -v176
	v_add_f16_e32 v118, v127, v118
	v_sub_f16_e32 v127, v199, v204
	v_add_f16_e32 v97, v97, v108
	v_add_f16_e32 v46, v56, v46
	;; [unrolled: 1-line block ×3, first 2 shown]
	v_mul_f16_e32 v236, 0x39e9, v147
	v_fma_f16 v211, v197, s7, v211
	v_add_f16_e32 v126, v153, v126
	v_add_f16_e32 v118, v127, v118
	;; [unrolled: 1-line block ×4, first 2 shown]
	v_accvgpr_read_b32 v97, a13
	v_add_f16_e32 v46, v57, v46
	v_add_f16_e32 v47, v85, v47
	v_mul_lo_u16_e32 v48, 17, v28
	v_mul_f16_e32 v246, 0x3722, v159
	v_mul_f16_e32 v224, 0xb8d2, v182
	v_add_f16_e32 v179, v211, v179
	v_add_f16_e32 v121, v127, v121
	;; [unrolled: 1-line block ×6, first 2 shown]
	v_lshlrev_b32_e32 v48, 2, v48
	v_pack_b32_f16 v27, v66, v27
	v_pack_b32_f16 v19, v19, v126
	v_mul_f16_e32 v242, 0xbbdd, v170
	v_mul_f16_e32 v248, 0xbacd, v190
	v_add_f16_e32 v121, v127, v121
	v_add_f16_e32 v127, v246, v157
	;; [unrolled: 1-line block ×6, first 2 shown]
	ds_write2_b32 v48, v19, v27 offset0:6 offset1:7
	v_pack_b32_f16 v19, v23, v186
	v_pack_b32_f16 v23, v179, v67
	v_mul_f16_e32 v211, 0x2de8, v182
	v_mul_f16_e32 v68, 0xbbdd, v197
	v_add_f16_e32 v121, v127, v121
	v_add_f16_e32 v127, v242, v167
	v_add_f16_e32 v96, v97, v96
	v_add_f16_e32 v97, v248, v138
	v_add_f16_e32 v46, v60, v46
	v_add_f16_e32 v47, v88, v47
	ds_write2_b32 v48, v23, v19 offset0:8 offset1:9
	v_accvgpr_read_b32 v19, a16
	v_accvgpr_read_b32 v23, a24
	v_mul_f16_e32 v214, 0x3b76, v190
	v_add_f16_e32 v121, v127, v121
	v_add_f16_e32 v127, v211, v181
	;; [unrolled: 1-line block ×6, first 2 shown]
	v_pack_b32_f16 v19, v23, v19
	v_accvgpr_read_b32 v23, a32
	v_accvgpr_read_b32 v27, a37
	v_mul_f16_e32 v254, 0xb8d2, v197
	v_add_f16_e32 v121, v127, v121
	v_add_f16_e32 v127, v214, v189
	;; [unrolled: 1-line block ×5, first 2 shown]
	v_pack_b32_f16 v23, v27, v23
	s_mov_b32 s4, 0x5040100
	v_add_f16_e32 v121, v127, v121
	v_add_f16_e32 v127, v254, v196
	v_pack_b32_f16 v49, v68, v69
	v_pack_b32_f16 v46, v46, v47
	ds_write2_b32 v48, v23, v19 offset0:10 offset1:11
	v_perm_b32 v19, v31, v65, s4
	v_perm_b32 v23, v94, v64, s4
	v_add_f16_e32 v121, v127, v121
	ds_write2_b32 v48, v46, v49 offset1:1
	v_pack_b32_f16 v46, v104, v107
	v_pack_b32_f16 v47, v98, v100
	ds_write2_b32 v48, v23, v19 offset0:12 offset1:13
	v_perm_b32 v19, v92, v63, s4
	v_perm_b32 v23, v95, v62, s4
	v_accvgpr_read_b32 v212, a0
	v_accvgpr_read_b32 v218, a6
	;; [unrolled: 1-line block ×7, first 2 shown]
	ds_write2_b32 v48, v47, v46 offset0:2 offset1:3
	v_pack_b32_f16 v46, v121, v118
	v_pack_b32_f16 v47, v111, v115
	ds_write2_b32 v48, v23, v19 offset0:14 offset1:15
	v_perm_b32 v19, v93, v42, s4
	ds_write2_b32 v48, v47, v46 offset0:4 offset1:5
	ds_write_b32 v48, v19 offset:64
.LBB0_17:
	s_or_b64 exec, exec, s[2:3]
	v_add_u32_e32 v23, 0x400, v33
	s_waitcnt lgkmcnt(0)
	s_barrier
	ds_read2_b32 v[50:51], v23 offset0:84 offset1:254
	v_add_u32_e32 v46, 0xf00, v33
	ds_read2_b32 v[52:53], v46 offset0:60 offset1:230
	v_add_u32_e32 v60, 0x1400, v33
	;; [unrolled: 2-line block ×3, first 2 shown]
	ds_read2_b32 v[56:57], v61 offset0:40 offset1:210
	s_waitcnt lgkmcnt(3)
	v_lshrrev_b32_e32 v27, 16, v51
	v_add_u32_e32 v66, 0x1a00, v33
	v_mul_f16_sdwa v80, v16, v27 dst_sel:DWORD dst_unused:UNUSED_PAD src0_sel:WORD_1 src1_sel:DWORD
	s_waitcnt lgkmcnt(2)
	v_lshrrev_b32_e32 v47, 16, v52
	ds_read2_b32 v[58:59], v66 offset0:36 offset1:206
	v_fma_f16 v80, v16, v51, v80
	v_mul_f16_sdwa v51, v16, v51 dst_sel:DWORD dst_unused:UNUSED_PAD src0_sel:WORD_1 src1_sel:DWORD
	s_waitcnt lgkmcnt(2)
	v_lshrrev_b32_e32 v67, 16, v55
	v_fma_f16 v16, v16, v27, -v51
	v_mul_f16_sdwa v27, v17, v47 dst_sel:DWORD dst_unused:UNUSED_PAD src0_sel:WORD_1 src1_sel:DWORD
	v_mul_f16_sdwa v51, v17, v52 dst_sel:DWORD dst_unused:UNUSED_PAD src0_sel:WORD_1 src1_sel:DWORD
	s_waitcnt lgkmcnt(1)
	v_lshrrev_b32_e32 v69, 16, v56
	v_fma_f16 v27, v17, v52, v27
	v_fma_f16 v17, v17, v47, -v51
	v_mul_f16_sdwa v47, v18, v67 dst_sel:DWORD dst_unused:UNUSED_PAD src0_sel:WORD_1 src1_sel:DWORD
	v_mul_f16_sdwa v51, v18, v55 dst_sel:DWORD dst_unused:UNUSED_PAD src0_sel:WORD_1 src1_sel:DWORD
	v_lshrrev_b32_e32 v74, 16, v53
	v_fma_f16 v47, v18, v55, v47
	v_fma_f16 v18, v18, v67, -v51
	v_mul_f16_sdwa v51, v20, v69 dst_sel:DWORD dst_unused:UNUSED_PAD src0_sel:WORD_1 src1_sel:DWORD
	v_mul_f16_sdwa v52, v20, v56 dst_sel:DWORD dst_unused:UNUSED_PAD src0_sel:WORD_1 src1_sel:DWORD
	ds_read2_b32 v[48:49], v33 offset1:170
	v_fma_f16 v51, v20, v56, v51
	v_fma_f16 v20, v20, v69, -v52
	v_mul_f16_sdwa v52, v21, v74 dst_sel:DWORD dst_unused:UNUSED_PAD src0_sel:WORD_1 src1_sel:DWORD
	s_waitcnt lgkmcnt(1)
	v_lshrrev_b32_e32 v75, 16, v58
	v_fma_f16 v52, v21, v53, v52
	v_mul_f16_sdwa v53, v21, v53 dst_sel:DWORD dst_unused:UNUSED_PAD src0_sel:WORD_1 src1_sel:DWORD
	v_lshrrev_b32_e32 v77, 16, v57
	v_fma_f16 v21, v21, v74, -v53
	v_mul_f16_sdwa v53, v22, v75 dst_sel:DWORD dst_unused:UNUSED_PAD src0_sel:WORD_1 src1_sel:DWORD
	v_mul_f16_sdwa v55, v22, v58 dst_sel:DWORD dst_unused:UNUSED_PAD src0_sel:WORD_1 src1_sel:DWORD
	v_lshrrev_b32_e32 v78, 16, v54
	v_fma_f16 v53, v22, v58, v53
	v_fma_f16 v22, v22, v75, -v55
	v_mul_f16_sdwa v55, v24, v77 dst_sel:DWORD dst_unused:UNUSED_PAD src0_sel:WORD_1 src1_sel:DWORD
	v_mul_f16_sdwa v56, v24, v57 dst_sel:DWORD dst_unused:UNUSED_PAD src0_sel:WORD_1 src1_sel:DWORD
	v_fma_f16 v55, v24, v57, v55
	v_fma_f16 v24, v24, v77, -v56
	v_mul_f16_sdwa v56, v25, v78 dst_sel:DWORD dst_unused:UNUSED_PAD src0_sel:WORD_1 src1_sel:DWORD
	s_waitcnt lgkmcnt(0)
	v_lshrrev_b32_e32 v19, 16, v48
	v_lshrrev_b32_e32 v79, 16, v59
	v_fma_f16 v56, v25, v54, v56
	v_mul_f16_sdwa v54, v25, v54 dst_sel:DWORD dst_unused:UNUSED_PAD src0_sel:WORD_1 src1_sel:DWORD
	v_fma_f16 v25, v25, v78, -v54
	v_mul_f16_sdwa v54, v26, v79 dst_sel:DWORD dst_unused:UNUSED_PAD src0_sel:WORD_1 src1_sel:DWORD
	v_mul_f16_sdwa v57, v26, v59 dst_sel:DWORD dst_unused:UNUSED_PAD src0_sel:WORD_1 src1_sel:DWORD
	v_sub_f16_e32 v27, v48, v27
	v_sub_f16_e32 v17, v19, v17
	v_sub_f16_e32 v47, v80, v47
	v_sub_f16_e32 v18, v16, v18
	v_lshrrev_b32_e32 v68, 16, v49
	v_fma_f16 v54, v26, v59, v54
	v_fma_f16 v26, v26, v79, -v57
	v_fma_f16 v48, v48, 2.0, -v27
	v_fma_f16 v19, v19, 2.0, -v17
	;; [unrolled: 1-line block ×4, first 2 shown]
	v_sub_f16_e32 v57, v48, v57
	v_sub_f16_e32 v16, v19, v16
	v_add_f16_e32 v18, v27, v18
	v_sub_f16_e32 v47, v17, v47
	v_sub_f16_e32 v52, v49, v52
	;; [unrolled: 1-line block ×5, first 2 shown]
	v_lshrrev_b32_e32 v76, 16, v50
	v_fma_f16 v48, v48, 2.0, -v57
	v_fma_f16 v19, v19, 2.0, -v16
	;; [unrolled: 1-line block ×8, first 2 shown]
	v_sub_f16_e32 v51, v49, v51
	v_sub_f16_e32 v20, v58, v20
	v_add_f16_e32 v22, v52, v22
	v_sub_f16_e32 v53, v21, v53
	v_sub_f16_e32 v56, v50, v56
	;; [unrolled: 1-line block ×5, first 2 shown]
	v_pack_b32_f16 v19, v48, v19
	v_pack_b32_f16 v17, v27, v17
	v_fma_f16 v49, v49, 2.0, -v51
	v_fma_f16 v58, v58, 2.0, -v20
	;; [unrolled: 1-line block ×8, first 2 shown]
	s_barrier
	ds_write2_b32 v212, v19, v17 offset1:17
	v_pack_b32_f16 v16, v57, v16
	v_pack_b32_f16 v17, v18, v47
	v_sub_f16_e32 v55, v50, v55
	v_sub_f16_e32 v24, v59, v24
	v_add_f16_e32 v26, v56, v26
	v_sub_f16_e32 v54, v25, v54
	ds_write2_b32 v212, v16, v17 offset0:34 offset1:51
	v_pack_b32_f16 v16, v49, v58
	v_pack_b32_f16 v17, v52, v21
	v_fma_f16 v50, v50, 2.0, -v55
	v_fma_f16 v59, v59, 2.0, -v24
	;; [unrolled: 1-line block ×4, first 2 shown]
	ds_write2_b32 v213, v16, v17 offset1:17
	v_pack_b32_f16 v16, v51, v20
	v_pack_b32_f16 v17, v22, v53
	ds_write2_b32 v213, v16, v17 offset0:34 offset1:51
	v_pack_b32_f16 v16, v50, v59
	v_pack_b32_f16 v17, v56, v25
	ds_write2_b32 v214, v16, v17 offset1:17
	v_pack_b32_f16 v16, v55, v24
	v_pack_b32_f16 v17, v26, v54
	ds_write2_b32 v214, v16, v17 offset0:34 offset1:51
	s_waitcnt lgkmcnt(0)
	s_barrier
	ds_read2_b32 v[16:17], v33 offset1:170
	ds_read2_b32 v[18:19], v61 offset0:40 offset1:210
	ds_read2_b32 v[20:21], v60 offset0:80 offset1:250
	;; [unrolled: 1-line block ×5, first 2 shown]
	s_mov_b32 s2, 0xbaee
	s_waitcnt lgkmcnt(5)
	v_lshrrev_b32_e32 v47, 16, v16
	s_waitcnt lgkmcnt(4)
	v_lshrrev_b32_e32 v48, 16, v18
	v_mul_f16_sdwa v59, v34, v48 dst_sel:DWORD dst_unused:UNUSED_PAD src0_sel:WORD_1 src1_sel:DWORD
	s_waitcnt lgkmcnt(3)
	v_lshrrev_b32_e32 v49, 16, v20
	v_fma_f16 v59, v34, v18, v59
	v_mul_f16_sdwa v18, v34, v18 dst_sel:DWORD dst_unused:UNUSED_PAD src0_sel:WORD_1 src1_sel:DWORD
	v_fma_f16 v18, v34, v48, -v18
	v_mul_f16_sdwa v34, v35, v49 dst_sel:DWORD dst_unused:UNUSED_PAD src0_sel:WORD_1 src1_sel:DWORD
	v_lshrrev_b32_e32 v51, 16, v19
	v_fma_f16 v34, v35, v20, v34
	v_mul_f16_sdwa v20, v35, v20 dst_sel:DWORD dst_unused:UNUSED_PAD src0_sel:WORD_1 src1_sel:DWORD
	v_fma_f16 v20, v35, v49, -v20
	v_mul_f16_sdwa v35, v36, v51 dst_sel:DWORD dst_unused:UNUSED_PAD src0_sel:WORD_1 src1_sel:DWORD
	;; [unrolled: 5-line block ×3, first 2 shown]
	s_waitcnt lgkmcnt(1)
	v_lshrrev_b32_e32 v54, 16, v24
	v_fma_f16 v36, v37, v21, v36
	v_mul_f16_sdwa v21, v37, v21 dst_sel:DWORD dst_unused:UNUSED_PAD src0_sel:WORD_1 src1_sel:DWORD
	v_fma_f16 v21, v37, v52, -v21
	v_mul_f16_sdwa v37, v38, v54 dst_sel:DWORD dst_unused:UNUSED_PAD src0_sel:WORD_1 src1_sel:DWORD
	s_waitcnt lgkmcnt(0)
	v_lshrrev_b32_e32 v55, 16, v26
	v_fma_f16 v37, v38, v24, v37
	v_mul_f16_sdwa v24, v38, v24 dst_sel:DWORD dst_unused:UNUSED_PAD src0_sel:WORD_1 src1_sel:DWORD
	v_fma_f16 v24, v38, v54, -v24
	v_mul_f16_sdwa v38, v39, v55 dst_sel:DWORD dst_unused:UNUSED_PAD src0_sel:WORD_1 src1_sel:DWORD
	v_lshrrev_b32_e32 v57, 16, v25
	v_fma_f16 v38, v39, v26, v38
	v_mul_f16_sdwa v26, v39, v26 dst_sel:DWORD dst_unused:UNUSED_PAD src0_sel:WORD_1 src1_sel:DWORD
	v_fma_f16 v26, v39, v55, -v26
	v_mul_f16_sdwa v39, v40, v57 dst_sel:DWORD dst_unused:UNUSED_PAD src0_sel:WORD_1 src1_sel:DWORD
	;; [unrolled: 5-line block ×3, first 2 shown]
	v_fma_f16 v40, v41, v27, v40
	v_mul_f16_sdwa v27, v41, v27 dst_sel:DWORD dst_unused:UNUSED_PAD src0_sel:WORD_1 src1_sel:DWORD
	v_add_f16_e32 v48, v59, v34
	v_fma_f16 v27, v41, v58, -v27
	v_add_f16_e32 v41, v16, v59
	v_fma_f16 v16, v48, -0.5, v16
	v_sub_f16_e32 v48, v18, v20
	s_movk_i32 s3, 0x3aee
	v_fma_f16 v49, v48, s2, v16
	v_fma_f16 v48, v48, s3, v16
	v_add_f16_e32 v16, v47, v18
	v_add_f16_e32 v51, v16, v20
	v_add_f16_e32 v16, v18, v20
	v_fma_f16 v16, v16, -0.5, v47
	v_sub_f16_e32 v18, v59, v34
	v_fma_f16 v20, v18, s3, v16
	v_fma_f16 v18, v18, s2, v16
	v_add_f16_e32 v16, v17, v35
	v_add_f16_e32 v47, v16, v36
	v_add_f16_e32 v16, v35, v36
	v_lshrrev_b32_e32 v50, 16, v17
	v_fma_f16 v16, v16, -0.5, v17
	v_sub_f16_e32 v17, v19, v21
	v_fma_f16 v52, v17, s2, v16
	v_fma_f16 v54, v17, s3, v16
	v_add_f16_e32 v16, v50, v19
	v_add_f16_e32 v55, v16, v21
	v_add_f16_e32 v16, v19, v21
	v_fma_f16 v16, v16, -0.5, v50
	v_sub_f16_e32 v17, v35, v36
	v_fma_f16 v19, v17, s3, v16
	v_fma_f16 v21, v17, s2, v16
	v_add_f16_e32 v16, v22, v37
	v_add_f16_e32 v36, v16, v38
	v_add_f16_e32 v16, v37, v38
	v_lshrrev_b32_e32 v53, 16, v22
	v_fma_f16 v16, v16, -0.5, v22
	v_sub_f16_e32 v17, v24, v26
	;; [unrolled: 15-line block ×3, first 2 shown]
	v_fma_f16 v16, v23, s2, v17
	v_fma_f16 v17, v23, s3, v17
	v_add_f16_e32 v23, v56, v25
	v_add_f16_e32 v25, v25, v27
	;; [unrolled: 1-line block ×4, first 2 shown]
	v_fma_f16 v25, v25, -0.5, v56
	v_sub_f16_e32 v27, v39, v40
	v_pack_b32_f16 v18, v48, v18
	v_fma_f16 v34, v27, s3, v25
	v_fma_f16 v35, v27, s2, v25
	s_barrier
	v_pack_b32_f16 v25, v41, v51
	v_pack_b32_f16 v20, v49, v20
	ds_write_b32 v215, v18 offset:544
	v_pack_b32_f16 v18, v47, v55
	v_pack_b32_f16 v19, v52, v19
	ds_write2_b32 v215, v25, v20 offset1:68
	ds_write2_b32 v216, v18, v19 offset1:68
	v_pack_b32_f16 v18, v54, v21
	ds_write_b32 v216, v18 offset:544
	v_pack_b32_f16 v18, v36, v57
	v_pack_b32_f16 v19, v22, v24
	ds_write2_b32 v217, v18, v19 offset1:68
	v_pack_b32_f16 v18, v50, v26
	ds_write_b32 v217, v18 offset:544
	v_pack_b32_f16 v18, v37, v23
	v_pack_b32_f16 v19, v16, v34
	ds_write2_b32 v218, v18, v19 offset1:68
	v_pack_b32_f16 v18, v17, v35
	v_add_u32_e32 v36, 0x600, v33
	v_add_u32_e32 v37, 0xc00, v33
	;; [unrolled: 1-line block ×4, first 2 shown]
	ds_write_b32 v218, v18 offset:544
	s_waitcnt lgkmcnt(0)
	s_barrier
	ds_read2_b32 v[18:19], v33 offset1:204
	ds_read2_b32 v[26:27], v36 offset0:24 offset1:228
	ds_read2_b32 v[24:25], v37 offset0:48 offset1:252
	;; [unrolled: 1-line block ×4, first 2 shown]
	s_and_saveexec_b64 s[2:3], s[0:1]
	s_cbranch_execz .LBB0_19
; %bb.18:
	v_add_u32_e32 v40, 0x1500, v33
	v_add_u32_e32 v16, 0x200, v33
	v_add_u32_e32 v31, 0x900, v33
	ds_read2_b32 v[42:43], v40 offset0:50 offset1:254
	v_add_u32_e32 v40, 0x1c00, v33
	ds_read2_b32 v[16:17], v16 offset0:42 offset1:246
	ds_read2_b32 v[64:65], v31 offset0:2 offset1:206
	;; [unrolled: 1-line block ×4, first 2 shown]
	s_waitcnt lgkmcnt(4)
	v_lshrrev_b32_e32 v93, 16, v42
	s_waitcnt lgkmcnt(3)
	v_lshrrev_b32_e32 v34, 16, v16
	v_lshrrev_b32_e32 v35, 16, v17
	s_waitcnt lgkmcnt(2)
	v_lshrrev_b32_e32 v94, 16, v64
	;; [unrolled: 3-line block ×3, first 2 shown]
	v_lshrrev_b32_e32 v92, 16, v63
	v_lshrrev_b32_e32 v71, 16, v43
	s_waitcnt lgkmcnt(0)
	v_lshrrev_b32_e32 v73, 16, v44
	v_lshrrev_b32_e32 v72, 16, v45
.LBB0_19:
	s_or_b64 exec, exec, s[2:3]
	s_waitcnt lgkmcnt(4)
	v_lshrrev_b32_e32 v41, 16, v19
	v_mul_f16_sdwa v54, v8, v41 dst_sel:DWORD dst_unused:UNUSED_PAD src0_sel:WORD_1 src1_sel:DWORD
	s_waitcnt lgkmcnt(3)
	v_lshrrev_b32_e32 v46, 16, v26
	v_fma_f16 v54, v8, v19, v54
	v_mul_f16_sdwa v19, v8, v19 dst_sel:DWORD dst_unused:UNUSED_PAD src0_sel:WORD_1 src1_sel:DWORD
	v_fma_f16 v8, v8, v41, -v19
	v_mul_f16_sdwa v19, v9, v46 dst_sel:DWORD dst_unused:UNUSED_PAD src0_sel:WORD_1 src1_sel:DWORD
	v_lshrrev_b32_e32 v47, 16, v27
	v_fma_f16 v19, v9, v26, v19
	v_mul_f16_sdwa v26, v9, v26 dst_sel:DWORD dst_unused:UNUSED_PAD src0_sel:WORD_1 src1_sel:DWORD
	v_fma_f16 v9, v9, v46, -v26
	v_mul_f16_sdwa v26, v10, v47 dst_sel:DWORD dst_unused:UNUSED_PAD src0_sel:WORD_1 src1_sel:DWORD
	s_waitcnt lgkmcnt(2)
	v_lshrrev_b32_e32 v48, 16, v24
	v_fma_f16 v26, v10, v27, v26
	v_mul_f16_sdwa v27, v10, v27 dst_sel:DWORD dst_unused:UNUSED_PAD src0_sel:WORD_1 src1_sel:DWORD
	v_fma_f16 v10, v10, v47, -v27
	v_mul_f16_sdwa v27, v11, v48 dst_sel:DWORD dst_unused:UNUSED_PAD src0_sel:WORD_1 src1_sel:DWORD
	v_lshrrev_b32_e32 v49, 16, v25
	v_fma_f16 v27, v11, v24, v27
	v_mul_f16_sdwa v24, v11, v24 dst_sel:DWORD dst_unused:UNUSED_PAD src0_sel:WORD_1 src1_sel:DWORD
	v_fma_f16 v11, v11, v48, -v24
	;; [unrolled: 11-line block ×3, first 2 shown]
	v_mul_f16_sdwa v22, v14, v51 dst_sel:DWORD dst_unused:UNUSED_PAD src0_sel:WORD_1 src1_sel:DWORD
	s_waitcnt lgkmcnt(0)
	v_lshrrev_b32_e32 v52, 16, v20
	v_fma_f16 v22, v14, v23, v22
	v_mul_f16_sdwa v23, v14, v23 dst_sel:DWORD dst_unused:UNUSED_PAD src0_sel:WORD_1 src1_sel:DWORD
	v_fma_f16 v14, v14, v51, -v23
	v_mul_f16_sdwa v23, v15, v52 dst_sel:DWORD dst_unused:UNUSED_PAD src0_sel:WORD_1 src1_sel:DWORD
	v_fma_f16 v23, v15, v20, v23
	v_mul_f16_sdwa v20, v15, v20 dst_sel:DWORD dst_unused:UNUSED_PAD src0_sel:WORD_1 src1_sel:DWORD
	v_fma_f16 v15, v15, v52, -v20
	v_add_f16_e32 v46, v27, v25
	v_fma_f16 v46, v46, -0.5, v18
	v_sub_f16_e32 v47, v9, v15
	s_mov_b32 s4, 0xbb9c
	s_movk_i32 s7, 0x3b9c
	v_fma_f16 v48, v47, s4, v46
	v_sub_f16_e32 v49, v11, v13
	s_mov_b32 s5, 0xb8b4
	v_sub_f16_e32 v50, v19, v27
	v_sub_f16_e32 v51, v23, v25
	v_fma_f16 v46, v47, s7, v46
	s_movk_i32 s16, 0x38b4
	v_fma_f16 v48, v49, s5, v48
	v_add_f16_e32 v50, v50, v51
	s_movk_i32 s6, 0x34f2
	v_fma_f16 v46, v49, s16, v46
	v_fma_f16 v48, v50, s6, v48
	;; [unrolled: 1-line block ×3, first 2 shown]
	v_add_f16_e32 v50, v19, v23
	v_lshrrev_b32_e32 v40, 16, v18
	v_add_f16_e32 v41, v18, v19
	v_fma_f16 v18, v50, -0.5, v18
	v_add_f16_e32 v41, v41, v27
	v_fma_f16 v50, v49, s7, v18
	v_sub_f16_e32 v51, v27, v19
	v_sub_f16_e32 v52, v25, v23
	v_fma_f16 v18, v49, s4, v18
	v_add_f16_e32 v49, v11, v13
	v_add_f16_e32 v41, v41, v25
	v_fma_f16 v50, v47, s5, v50
	v_add_f16_e32 v51, v51, v52
	v_fma_f16 v18, v47, s16, v18
	v_fma_f16 v49, v49, -0.5, v40
	v_sub_f16_e32 v19, v19, v23
	v_add_f16_e32 v41, v41, v23
	v_fma_f16 v50, v51, s6, v50
	v_fma_f16 v18, v51, s6, v18
	;; [unrolled: 1-line block ×3, first 2 shown]
	v_sub_f16_e32 v25, v27, v25
	v_sub_f16_e32 v27, v9, v11
	;; [unrolled: 1-line block ×3, first 2 shown]
	v_fma_f16 v49, v19, s4, v49
	v_lshrrev_b32_e32 v53, 16, v21
	v_add_f16_e32 v47, v40, v9
	v_fma_f16 v23, v25, s16, v23
	v_add_f16_e32 v27, v27, v51
	v_fma_f16 v49, v25, s5, v49
	v_mul_f16_sdwa v20, v70, v53 dst_sel:DWORD dst_unused:UNUSED_PAD src0_sel:WORD_1 src1_sel:DWORD
	v_add_f16_e32 v47, v47, v11
	v_fma_f16 v23, v27, s6, v23
	v_fma_f16 v27, v27, s6, v49
	v_add_f16_e32 v49, v9, v15
	v_fma_f16 v20, v70, v21, v20
	v_mul_f16_sdwa v21, v70, v21 dst_sel:DWORD dst_unused:UNUSED_PAD src0_sel:WORD_1 src1_sel:DWORD
	v_add_f16_e32 v47, v47, v13
	v_fma_f16 v40, v49, -0.5, v40
	v_fma_f16 v21, v70, v53, -v21
	v_add_f16_e32 v47, v47, v15
	v_fma_f16 v49, v25, s4, v40
	v_sub_f16_e32 v9, v11, v9
	v_sub_f16_e32 v11, v13, v15
	v_fma_f16 v13, v25, s7, v40
	v_add_f16_e32 v15, v24, v22
	v_fma_f16 v49, v19, s16, v49
	v_add_f16_e32 v9, v9, v11
	v_fma_f16 v13, v19, s5, v13
	v_fma_f16 v15, v15, -0.5, v54
	v_sub_f16_e32 v19, v10, v21
	v_fma_f16 v11, v9, s6, v49
	v_fma_f16 v25, v19, s4, v15
	v_sub_f16_e32 v40, v12, v14
	v_sub_f16_e32 v49, v26, v24
	;; [unrolled: 1-line block ×3, first 2 shown]
	v_fma_f16 v15, v19, s7, v15
	v_fma_f16 v25, v40, s5, v25
	v_add_f16_e32 v49, v49, v51
	v_fma_f16 v15, v40, s16, v15
	v_fma_f16 v9, v9, s6, v13
	v_add_f16_e32 v13, v54, v26
	;; [unrolled: 3-line block ×3, first 2 shown]
	v_add_f16_e32 v13, v13, v24
	v_fma_f16 v49, v49, -0.5, v54
	v_add_f16_e32 v13, v13, v22
	v_fma_f16 v51, v40, s7, v49
	v_fma_f16 v40, v40, s4, v49
	v_add_f16_e32 v49, v12, v14
	v_add_f16_e32 v13, v13, v20
	v_sub_f16_e32 v52, v24, v26
	v_sub_f16_e32 v53, v22, v20
	v_fma_f16 v49, v49, -0.5, v8
	v_sub_f16_e32 v20, v26, v20
	v_fma_f16 v51, v19, s5, v51
	v_add_f16_e32 v52, v52, v53
	v_fma_f16 v19, v19, s16, v40
	v_fma_f16 v26, v20, s7, v49
	v_sub_f16_e32 v22, v24, v22
	v_fma_f16 v51, v52, s6, v51
	v_fma_f16 v19, v52, s6, v19
	;; [unrolled: 1-line block ×3, first 2 shown]
	v_sub_f16_e32 v26, v10, v12
	v_sub_f16_e32 v52, v21, v14
	v_fma_f16 v49, v20, s4, v49
	v_add_f16_e32 v26, v26, v52
	v_fma_f16 v49, v22, s5, v49
	v_fma_f16 v24, v26, s6, v24
	;; [unrolled: 1-line block ×3, first 2 shown]
	v_add_f16_e32 v49, v10, v21
	v_add_f16_e32 v40, v8, v10
	v_fma_f16 v8, v49, -0.5, v8
	v_add_f16_e32 v40, v40, v12
	v_fma_f16 v49, v22, s4, v8
	v_sub_f16_e32 v10, v12, v10
	v_sub_f16_e32 v12, v14, v21
	v_fma_f16 v8, v22, s7, v8
	v_fma_f16 v49, v20, s16, v49
	v_add_f16_e32 v10, v10, v12
	v_fma_f16 v8, v20, s5, v8
	v_add_f16_e32 v40, v40, v14
	v_fma_f16 v12, v10, s6, v49
	v_fma_f16 v8, v10, s6, v8
	v_mul_f16_e32 v14, 0xb8b4, v24
	s_movk_i32 s17, 0x3a79
	v_mul_f16_e32 v24, 0x3a79, v24
	v_add_f16_e32 v40, v40, v21
	v_fma_f16 v14, v25, s17, v14
	v_mul_f16_e32 v21, 0xbb9c, v12
	v_mul_f16_e32 v49, 0xbb9c, v8
	s_mov_b32 s18, 0xb4f2
	v_fma_f16 v24, v25, s16, v24
	v_mul_f16_e32 v12, 0x34f2, v12
	v_mul_f16_e32 v8, 0xb4f2, v8
	v_add_f16_e32 v10, v41, v13
	v_add_f16_e32 v20, v48, v14
	v_fma_f16 v21, v51, s6, v21
	v_fma_f16 v49, v19, s18, v49
	v_mul_f16_e32 v53, 0xb8b4, v26
	s_mov_b32 s19, 0xba79
	v_add_f16_e32 v55, v47, v40
	v_add_f16_e32 v25, v23, v24
	v_fma_f16 v12, v51, s7, v12
	v_fma_f16 v8, v19, s7, v8
	v_mul_f16_e32 v26, 0xba79, v26
	v_add_f16_e32 v22, v50, v21
	v_add_f16_e32 v52, v18, v49
	v_fma_f16 v53, v15, s19, v53
	v_add_f16_e32 v51, v11, v12
	v_add_f16_e32 v19, v9, v8
	v_fma_f16 v15, v15, s16, v26
	v_sub_f16_e32 v11, v11, v12
	v_pack_b32_f16 v10, v10, v55
	v_pack_b32_f16 v12, v20, v25
	v_add_f16_e32 v54, v46, v53
	v_add_f16_e32 v26, v27, v15
	v_sub_f16_e32 v13, v41, v13
	v_sub_f16_e32 v40, v47, v40
	ds_write2_b32 v33, v10, v12 offset1:204
	v_pack_b32_f16 v10, v22, v51
	v_pack_b32_f16 v12, v52, v19
	v_sub_f16_e32 v14, v48, v14
	v_sub_f16_e32 v21, v50, v21
	;; [unrolled: 1-line block ×7, first 2 shown]
	ds_write2_b32 v36, v10, v12 offset0:24 offset1:228
	v_pack_b32_f16 v10, v54, v26
	v_pack_b32_f16 v12, v13, v40
	ds_write2_b32 v37, v10, v12 offset0:48 offset1:252
	v_pack_b32_f16 v10, v14, v23
	v_pack_b32_f16 v11, v21, v11
	;; [unrolled: 1-line block ×4, first 2 shown]
	ds_write2_b32 v38, v10, v11 offset0:8 offset1:212
	ds_write2_b32 v39, v8, v9 offset0:32 offset1:236
	s_and_saveexec_b64 s[2:3], s[0:1]
	s_cbranch_execz .LBB0_21
; %bb.20:
	v_mul_f16_sdwa v8, v1, v64 dst_sel:DWORD dst_unused:UNUSED_PAD src0_sel:WORD_1 src1_sel:DWORD
	v_mul_f16_sdwa v9, v3, v62 dst_sel:DWORD dst_unused:UNUSED_PAD src0_sel:WORD_1 src1_sel:DWORD
	;; [unrolled: 1-line block ×4, first 2 shown]
	v_fma_f16 v8, v1, v94, -v8
	v_fma_f16 v9, v3, v95, -v9
	;; [unrolled: 1-line block ×4, first 2 shown]
	v_mul_f16_sdwa v14, v1, v94 dst_sel:DWORD dst_unused:UNUSED_PAD src0_sel:WORD_1 src1_sel:DWORD
	v_mul_f16_sdwa v19, v2, v31 dst_sel:DWORD dst_unused:UNUSED_PAD src0_sel:WORD_1 src1_sel:DWORD
	;; [unrolled: 1-line block ×6, first 2 shown]
	v_sub_f16_e32 v10, v8, v9
	v_sub_f16_e32 v13, v11, v12
	v_fma_f16 v1, v1, v64, v14
	v_mul_f16_sdwa v14, v7, v73 dst_sel:DWORD dst_unused:UNUSED_PAD src0_sel:WORD_1 src1_sel:DWORD
	v_mul_f16_sdwa v18, v3, v95 dst_sel:DWORD dst_unused:UNUSED_PAD src0_sel:WORD_1 src1_sel:DWORD
	v_fma_f16 v19, v2, v65, v19
	v_fma_f16 v20, v4, v63, v20
	;; [unrolled: 1-line block ×4, first 2 shown]
	v_fma_f16 v2, v2, v31, -v26
	v_mul_f16_sdwa v31, v4, v63 dst_sel:DWORD dst_unused:UNUSED_PAD src0_sel:WORD_1 src1_sel:DWORD
	v_add_f16_e32 v10, v10, v13
	v_add_f16_e32 v13, v9, v12
	v_fma_f16 v7, v7, v44, v14
	v_fma_f16 v3, v3, v62, v18
	v_mul_f16_sdwa v18, v5, v93 dst_sel:DWORD dst_unused:UNUSED_PAD src0_sel:WORD_1 src1_sel:DWORD
	v_sub_f16_e32 v21, v19, v20
	v_sub_f16_e32 v24, v22, v23
	v_mul_f16_sdwa v26, v29, v45 dst_sel:DWORD dst_unused:UNUSED_PAD src0_sel:WORD_1 src1_sel:DWORD
	v_fma_f16 v4, v4, v92, -v31
	v_mul_f16_sdwa v31, v6, v43 dst_sel:DWORD dst_unused:UNUSED_PAD src0_sel:WORD_1 src1_sel:DWORD
	v_fma_f16 v13, v13, -0.5, v34
	v_sub_f16_e32 v14, v1, v7
	v_fma_f16 v5, v5, v42, v18
	v_add_f16_e32 v21, v21, v24
	v_mul_f16_sdwa v24, v0, v35 dst_sel:DWORD dst_unused:UNUSED_PAD src0_sel:WORD_1 src1_sel:DWORD
	v_fma_f16 v26, v29, v72, -v26
	v_fma_f16 v6, v6, v71, -v31
	v_sub_f16_e32 v41, v9, v8
	v_sub_f16_e32 v42, v12, v11
	v_fma_f16 v15, v14, s4, v13
	v_sub_f16_e32 v18, v3, v5
	v_fma_f16 v24, v0, v17, v24
	v_add_f16_e32 v25, v20, v23
	v_mul_f16_sdwa v17, v0, v17 dst_sel:DWORD dst_unused:UNUSED_PAD src0_sel:WORD_1 src1_sel:DWORD
	v_add_f16_e32 v41, v41, v42
	v_add_f16_e32 v42, v8, v11
	v_sub_f16_e32 v47, v4, v2
	v_sub_f16_e32 v48, v6, v26
	v_fma_f16 v13, v14, s7, v13
	v_fma_f16 v15, v18, s5, v15
	v_fma_f16 v25, v25, -0.5, v24
	v_sub_f16_e32 v27, v2, v26
	v_fma_f16 v0, v0, v35, -v17
	v_add_f16_e32 v17, v4, v6
	v_fma_f16 v42, v42, -0.5, v34
	v_sub_f16_e32 v44, v20, v19
	v_sub_f16_e32 v45, v23, v22
	v_add_f16_e32 v47, v47, v48
	v_add_f16_e32 v48, v2, v26
	v_fma_f16 v13, v18, s16, v13
	v_fma_f16 v15, v10, s6, v15
	v_fma_f16 v29, v27, s7, v25
	v_sub_f16_e32 v31, v4, v6
	v_fma_f16 v17, v17, -0.5, v0
	v_fma_f16 v43, v18, s7, v42
	v_add_f16_e32 v44, v44, v45
	v_add_f16_e32 v45, v19, v22
	v_fma_f16 v48, v48, -0.5, v0
	v_fma_f16 v42, v18, s4, v42
	v_fma_f16 v10, v10, s6, v13
	;; [unrolled: 1-line block ×3, first 2 shown]
	v_add_f16_e32 v0, v2, v0
	v_fma_f16 v29, v31, s16, v29
	v_sub_f16_e32 v36, v2, v4
	v_sub_f16_e32 v37, v26, v6
	;; [unrolled: 1-line block ×3, first 2 shown]
	v_fma_f16 v43, v14, s5, v43
	v_fma_f16 v45, v45, -0.5, v24
	v_fma_f16 v42, v14, s16, v42
	v_fma_f16 v13, v31, s5, v13
	v_add_f16_e32 v0, v4, v0
	v_fma_f16 v29, v21, s6, v29
	v_add_f16_e32 v36, v36, v37
	v_fma_f16 v37, v35, s4, v17
	v_sub_f16_e32 v38, v20, v23
	v_fma_f16 v43, v41, s6, v43
	v_fma_f16 v46, v31, s4, v45
	;; [unrolled: 1-line block ×5, first 2 shown]
	v_add_f16_e32 v21, v8, v34
	v_add_f16_e32 v0, v6, v0
	v_sub_f16_e32 v4, v1, v3
	v_sub_f16_e32 v6, v7, v5
	v_fma_f16 v37, v38, s5, v37
	v_fma_f16 v46, v27, s16, v46
	;; [unrolled: 1-line block ×3, first 2 shown]
	v_add_f16_e32 v21, v9, v21
	v_add_f16_e32 v0, v26, v0
	;; [unrolled: 1-line block ×4, first 2 shown]
	v_sub_f16_e32 v26, v3, v1
	v_sub_f16_e32 v27, v5, v7
	v_fma_f16 v37, v36, s6, v37
	v_fma_f16 v14, v35, s7, v17
	v_add_f16_e32 v21, v12, v21
	v_fma_f16 v6, v6, -0.5, v16
	v_sub_f16_e32 v8, v8, v11
	v_add_f16_e32 v26, v26, v27
	v_add_f16_e32 v27, v1, v7
	v_add_f16_e32 v1, v1, v16
	v_mul_f16_e32 v39, 0xba79, v37
	v_fma_f16 v46, v44, s6, v46
	v_fma_f16 v49, v38, s7, v48
	;; [unrolled: 1-line block ×5, first 2 shown]
	v_add_f16_e32 v21, v11, v21
	v_fma_f16 v11, v8, s7, v6
	v_sub_f16_e32 v9, v9, v12
	v_mul_f16_e32 v12, 0xb8b4, v37
	v_fma_f16 v27, v27, -0.5, v16
	v_fma_f16 v6, v8, s4, v6
	v_add_f16_e32 v1, v3, v1
	v_add_f16_e32 v3, v19, v24
	v_fma_f16 v39, v29, s16, v39
	v_fma_f16 v49, v35, s5, v49
	;; [unrolled: 1-line block ×9, first 2 shown]
	v_add_f16_e32 v3, v20, v3
	v_fma_f16 v49, v47, s6, v49
	v_fma_f16 v44, v47, s6, v44
	v_mul_f16_e32 v17, 0x3a79, v14
	v_fma_f16 v11, v4, s6, v11
	v_fma_f16 v29, v8, s16, v29
	;; [unrolled: 1-line block ×4, first 2 shown]
	v_mul_f16_e32 v6, 0xb8b4, v14
	v_add_f16_e32 v1, v5, v1
	v_add_f16_e32 v3, v23, v3
	v_mul_f16_e32 v50, 0xb4f2, v49
	v_mul_f16_e32 v45, 0x34f2, v44
	v_fma_f16 v17, v13, s16, v17
	v_fma_f16 v29, v26, s6, v29
	v_mul_f16_e32 v31, 0xbb9c, v49
	v_fma_f16 v26, v26, s6, v27
	v_mul_f16_e32 v27, 0xbb9c, v44
	v_fma_f16 v6, v13, s17, v6
	v_add_f16_e32 v1, v7, v1
	v_add_f16_e32 v3, v22, v3
	v_fma_f16 v50, v46, s7, v50
	v_fma_f16 v45, v42, s7, v45
	v_sub_f16_e32 v18, v10, v17
	v_sub_f16_e32 v2, v21, v0
	v_fma_f16 v31, v46, s18, v31
	v_fma_f16 v27, v42, s6, v27
	v_sub_f16_e32 v8, v4, v6
	v_sub_f16_e32 v5, v1, v3
	v_add_f16_e32 v10, v10, v17
	v_add_f16_e32 v0, v21, v0
	v_add_f16_e32 v4, v4, v6
	v_add_f16_e32 v1, v1, v3
	v_sub_f16_e32 v25, v11, v12
	v_add_f16_e32 v9, v43, v50
	v_add_f16_e32 v13, v41, v45
	;; [unrolled: 1-line block ×5, first 2 shown]
	v_pack_b32_f16 v0, v1, v0
	v_pack_b32_f16 v1, v4, v10
	v_add_u32_e32 v3, 0x200, v33
	v_add_f16_e32 v7, v15, v39
	ds_write2_b32 v3, v0, v1 offset0:42 offset1:246
	v_pack_b32_f16 v0, v14, v13
	v_pack_b32_f16 v1, v12, v9
	v_add_u32_e32 v3, 0x900, v33
	v_sub_f16_e32 v47, v41, v45
	v_sub_f16_e32 v35, v26, v27
	ds_write2_b32 v3, v0, v1 offset0:2 offset1:206
	v_pack_b32_f16 v0, v11, v7
	v_pack_b32_f16 v1, v5, v2
	v_add_u32_e32 v2, 0xf00, v33
	v_sub_f16_e32 v40, v15, v39
	v_sub_f16_e32 v51, v43, v50
	;; [unrolled: 1-line block ×3, first 2 shown]
	ds_write2_b32 v2, v0, v1 offset0:26 offset1:230
	v_pack_b32_f16 v0, v8, v18
	v_pack_b32_f16 v1, v35, v47
	v_add_u32_e32 v2, 0x1500, v33
	ds_write2_b32 v2, v0, v1 offset0:50 offset1:254
	v_pack_b32_f16 v0, v34, v51
	v_pack_b32_f16 v1, v25, v40
	v_add_u32_e32 v2, 0x1c00, v33
	ds_write2_b32 v2, v0, v1 offset0:10 offset1:214
.LBB0_21:
	s_or_b64 exec, exec, s[2:3]
	s_waitcnt lgkmcnt(0)
	s_barrier
	s_and_b64 exec, exec, vcc
	s_cbranch_execz .LBB0_23
; %bb.22:
	global_load_dword v5, v30, s[12:13]
	ds_read_b32 v12, v33
	v_mad_u64_u32 v[2:3], s[0:1], s10, v32, 0
	v_mad_u64_u32 v[6:7], s[0:1], s8, v28, 0
	v_mov_b32_e32 v8, v3
	s_waitcnt lgkmcnt(0)
	v_lshrrev_b32_e32 v3, 16, v12
	v_mov_b32_e32 v10, v7
	v_mad_u64_u32 v[8:9], s[0:1], s11, v32, v[8:9]
	v_mad_u64_u32 v[10:11], s[0:1], s9, v28, v[10:11]
	s_mov_b32 s6, 0x10101010
	s_mov_b32 s7, 0x3f401010
	s_movk_i32 s16, 0x1ff
	v_mov_b32_e32 v1, s15
	s_movk_i32 s15, 0xffe
	v_mov_b32_e32 v4, 0x7c00
	;; [unrolled: 2-line block ×3, first 2 shown]
	s_mov_b32 s14, 0x8000
	s_mov_b32 s17, 0xffff
	s_mul_i32 s11, s9, 0x1e0
	v_mov_b32_e32 v31, 0
	s_waitcnt vmcnt(0)
	v_mul_f16_sdwa v7, v3, v5 dst_sel:DWORD dst_unused:UNUSED_PAD src0_sel:DWORD src1_sel:WORD_1
	v_mul_f16_sdwa v9, v12, v5 dst_sel:DWORD dst_unused:UNUSED_PAD src0_sel:DWORD src1_sel:WORD_1
	v_fma_f16 v7, v12, v5, v7
	v_fma_f16 v3, v5, v3, -v9
	v_cvt_f32_f16_e32 v5, v7
	v_cvt_f32_f16_e32 v11, v3
	v_mov_b32_e32 v3, v8
	v_mov_b32_e32 v7, v10
	v_cvt_f64_f32_e32 v[8:9], v5
	v_cvt_f64_f32_e32 v[10:11], v11
	v_mul_f64 v[8:9], v[8:9], s[6:7]
	v_mul_f64 v[10:11], v[10:11], s[6:7]
	v_and_or_b32 v5, v9, s16, v8
	v_and_or_b32 v10, v11, s16, v10
	v_cmp_ne_u32_e32 vcc, 0, v5
	v_lshrrev_b32_e32 v8, 8, v9
	v_bfe_u32 v12, v9, 20, 11
	v_cndmask_b32_e64 v5, 0, 1, vcc
	v_cmp_ne_u32_e32 vcc, 0, v10
	v_lshrrev_b32_e32 v13, 8, v11
	v_bfe_u32 v14, v11, 20, 11
	v_sub_u32_e32 v15, 0x3f1, v12
	v_cndmask_b32_e64 v10, 0, 1, vcc
	v_and_or_b32 v5, v8, s15, v5
	v_sub_u32_e32 v16, 0x3f1, v14
	v_med3_i32 v8, v15, 0, 13
	v_and_or_b32 v10, v13, s15, v10
	v_or_b32_e32 v15, 0x1000, v5
	v_add_u32_e32 v12, 0xfffffc10, v12
	v_med3_i32 v13, v16, 0, 13
	v_cmp_ne_u32_e32 vcc, 0, v5
	v_or_b32_e32 v17, 0x1000, v10
	v_lshrrev_b32_e32 v19, v8, v15
	v_add_u32_e32 v14, 0xfffffc10, v14
	v_lshl_or_b32 v16, v12, 12, v5
	v_cndmask_b32_e64 v5, 0, 1, vcc
	v_cmp_ne_u32_e32 vcc, 0, v10
	v_lshrrev_b32_e32 v20, v13, v17
	v_lshlrev_b32_e32 v8, v8, v19
	v_lshl_or_b32 v18, v14, 12, v10
	v_cndmask_b32_e64 v10, 0, 1, vcc
	v_lshlrev_b32_e32 v13, v13, v20
	v_cmp_ne_u32_e32 vcc, v8, v15
	v_lshl_or_b32 v5, v5, 9, v4
	v_lshl_or_b32 v10, v10, 9, v4
	v_cndmask_b32_e64 v8, 0, 1, vcc
	v_cmp_ne_u32_e32 vcc, v13, v17
	v_or_b32_e32 v8, v19, v8
	v_and_b32_sdwa v9, v9, s14 dst_sel:DWORD dst_unused:UNUSED_PAD src0_sel:WORD_1 src1_sel:DWORD
	v_cndmask_b32_e64 v13, 0, 1, vcc
	v_cmp_gt_i32_e32 vcc, 1, v12
	v_or_b32_e32 v13, v20, v13
	v_lshrrev_b32_e32 v11, 16, v11
	v_cndmask_b32_e32 v8, v16, v8, vcc
	v_cmp_gt_i32_e32 vcc, 1, v14
	v_and_b32_e32 v15, 7, v8
	v_cmp_eq_u32_e64 s[0:1], 3, v15
	v_cndmask_b32_e32 v13, v18, v13, vcc
	v_cmp_lt_i32_e32 vcc, 5, v15
	v_lshrrev_b32_e32 v8, 2, v8
	v_and_b32_e32 v16, 7, v13
	s_or_b64 vcc, s[0:1], vcc
	v_cmp_lt_i32_e64 s[2:3], 5, v16
	v_cmp_eq_u32_e64 s[4:5], 3, v16
	v_addc_co_u32_e32 v8, vcc, 0, v8, vcc
	v_lshrrev_b32_e32 v13, 2, v13
	s_or_b64 vcc, s[4:5], s[2:3]
	v_addc_co_u32_e32 v13, vcc, 0, v13, vcc
	v_cmp_gt_i32_e32 vcc, 31, v12
	v_lshl_add_u64 v[0:1], v[2:3], 2, v[0:1]
	v_lshl_add_u64 v[2:3], v[6:7], 2, v[0:1]
	v_cndmask_b32_e32 v8, v4, v8, vcc
	v_cmp_gt_i32_e32 vcc, 31, v14
	ds_read2_b32 v[6:7], v30 offset0:120 offset1:240
	s_nop 0
	v_cndmask_b32_e32 v13, v4, v13, vcc
	v_cmp_eq_u32_e32 vcc, s10, v12
	s_nop 1
	v_cndmask_b32_e32 v5, v8, v5, vcc
	v_cmp_eq_u32_e32 vcc, s10, v14
	v_bitop3_b32 v5, v9, s17, v5 bitop3:0xc8
	s_waitcnt lgkmcnt(0)
	v_lshrrev_b32_e32 v9, 16, v6
	v_cndmask_b32_e32 v8, v13, v10, vcc
	v_and_or_b32 v8, v11, s14, v8
	v_lshl_or_b32 v5, v8, 16, v5
	global_store_dword v[2:3], v5, off
	global_load_dword v8, v30, s[12:13] offset:480
	v_mov_b32_e32 v5, 0x1e0
	v_mad_u64_u32 v[2:3], s[0:1], s8, v5, v[2:3]
	v_add_u32_e32 v3, s11, v3
	s_waitcnt vmcnt(0)
	v_mul_f16_sdwa v10, v9, v8 dst_sel:DWORD dst_unused:UNUSED_PAD src0_sel:DWORD src1_sel:WORD_1
	v_mul_f16_sdwa v11, v6, v8 dst_sel:DWORD dst_unused:UNUSED_PAD src0_sel:DWORD src1_sel:WORD_1
	v_fma_f16 v6, v6, v8, v10
	v_fma_f16 v8, v8, v9, -v11
	v_cvt_f32_f16_e32 v6, v6
	v_cvt_f32_f16_e32 v10, v8
	v_cvt_f64_f32_e32 v[8:9], v6
	v_cvt_f64_f32_e32 v[10:11], v10
	v_mul_f64 v[8:9], v[8:9], s[6:7]
	v_mul_f64 v[10:11], v[10:11], s[6:7]
	v_and_or_b32 v6, v9, s16, v8
	v_and_or_b32 v10, v11, s16, v10
	v_cmp_ne_u32_e32 vcc, 0, v6
	v_lshrrev_b32_e32 v8, 8, v9
	v_bfe_u32 v12, v9, 20, 11
	v_cndmask_b32_e64 v6, 0, 1, vcc
	v_cmp_ne_u32_e32 vcc, 0, v10
	v_lshrrev_b32_e32 v13, 8, v11
	v_bfe_u32 v14, v11, 20, 11
	v_sub_u32_e32 v15, 0x3f1, v12
	v_cndmask_b32_e64 v10, 0, 1, vcc
	v_and_or_b32 v6, v8, s15, v6
	v_sub_u32_e32 v16, 0x3f1, v14
	v_med3_i32 v8, v15, 0, 13
	v_and_or_b32 v10, v13, s15, v10
	v_or_b32_e32 v15, 0x1000, v6
	v_add_u32_e32 v12, 0xfffffc10, v12
	v_med3_i32 v13, v16, 0, 13
	v_cmp_ne_u32_e32 vcc, 0, v6
	v_or_b32_e32 v17, 0x1000, v10
	v_lshrrev_b32_e32 v19, v8, v15
	v_add_u32_e32 v14, 0xfffffc10, v14
	v_lshl_or_b32 v16, v12, 12, v6
	v_cndmask_b32_e64 v6, 0, 1, vcc
	v_cmp_ne_u32_e32 vcc, 0, v10
	v_lshrrev_b32_e32 v20, v13, v17
	v_lshlrev_b32_e32 v8, v8, v19
	v_lshl_or_b32 v18, v14, 12, v10
	v_cndmask_b32_e64 v10, 0, 1, vcc
	v_lshlrev_b32_e32 v13, v13, v20
	v_cmp_ne_u32_e32 vcc, v8, v15
	v_lshl_or_b32 v6, v6, 9, v4
	v_lshl_or_b32 v10, v10, 9, v4
	v_cndmask_b32_e64 v8, 0, 1, vcc
	v_cmp_ne_u32_e32 vcc, v13, v17
	v_or_b32_e32 v8, v19, v8
	v_and_b32_sdwa v9, v9, s14 dst_sel:DWORD dst_unused:UNUSED_PAD src0_sel:WORD_1 src1_sel:DWORD
	v_cndmask_b32_e64 v13, 0, 1, vcc
	v_cmp_gt_i32_e32 vcc, 1, v12
	v_or_b32_e32 v13, v20, v13
	v_lshrrev_b32_e32 v11, 16, v11
	v_cndmask_b32_e32 v8, v16, v8, vcc
	v_cmp_gt_i32_e32 vcc, 1, v14
	v_and_b32_e32 v15, 7, v8
	v_cmp_eq_u32_e64 s[0:1], 3, v15
	v_cndmask_b32_e32 v13, v18, v13, vcc
	v_cmp_lt_i32_e32 vcc, 5, v15
	v_lshrrev_b32_e32 v8, 2, v8
	v_and_b32_e32 v16, 7, v13
	s_or_b64 vcc, s[0:1], vcc
	v_cmp_lt_i32_e64 s[2:3], 5, v16
	v_cmp_eq_u32_e64 s[4:5], 3, v16
	v_addc_co_u32_e32 v8, vcc, 0, v8, vcc
	v_lshrrev_b32_e32 v13, 2, v13
	s_or_b64 vcc, s[4:5], s[2:3]
	v_addc_co_u32_e32 v13, vcc, 0, v13, vcc
	v_cmp_gt_i32_e32 vcc, 31, v12
	s_nop 1
	v_cndmask_b32_e32 v8, v4, v8, vcc
	v_cmp_gt_i32_e32 vcc, 31, v14
	s_nop 1
	v_cndmask_b32_e32 v13, v4, v13, vcc
	v_cmp_eq_u32_e32 vcc, s10, v12
	s_nop 1
	v_cndmask_b32_e32 v6, v8, v6, vcc
	v_cmp_eq_u32_e32 vcc, s10, v14
	v_bitop3_b32 v6, v9, s17, v6 bitop3:0xc8
	s_nop 0
	v_cndmask_b32_e32 v8, v13, v10, vcc
	v_and_or_b32 v8, v11, s14, v8
	v_lshl_or_b32 v6, v8, 16, v6
	global_store_dword v[2:3], v6, off
	global_load_dword v6, v30, s[12:13] offset:960
	v_lshrrev_b32_e32 v8, 16, v7
	v_mad_u64_u32 v[2:3], s[0:1], s8, v5, v[2:3]
	v_add_u32_e32 v3, s11, v3
	s_waitcnt vmcnt(0)
	v_mul_f16_sdwa v9, v8, v6 dst_sel:DWORD dst_unused:UNUSED_PAD src0_sel:DWORD src1_sel:WORD_1
	v_mul_f16_sdwa v10, v7, v6 dst_sel:DWORD dst_unused:UNUSED_PAD src0_sel:DWORD src1_sel:WORD_1
	v_fma_f16 v7, v7, v6, v9
	v_fma_f16 v6, v6, v8, -v10
	v_cvt_f32_f16_e32 v7, v7
	v_cvt_f32_f16_e32 v8, v6
	v_cvt_f64_f32_e32 v[6:7], v7
	v_cvt_f64_f32_e32 v[8:9], v8
	v_mul_f64 v[6:7], v[6:7], s[6:7]
	v_mul_f64 v[8:9], v[8:9], s[6:7]
	v_and_or_b32 v6, v7, s16, v6
	v_and_or_b32 v8, v9, s16, v8
	v_cmp_ne_u32_e32 vcc, 0, v6
	v_lshrrev_b32_e32 v10, 8, v7
	v_bfe_u32 v11, v7, 20, 11
	v_cndmask_b32_e64 v6, 0, 1, vcc
	v_cmp_ne_u32_e32 vcc, 0, v8
	v_lshrrev_b32_e32 v12, 8, v9
	v_bfe_u32 v13, v9, 20, 11
	v_sub_u32_e32 v14, 0x3f1, v11
	v_cndmask_b32_e64 v8, 0, 1, vcc
	v_and_or_b32 v6, v10, s15, v6
	v_sub_u32_e32 v15, 0x3f1, v13
	v_med3_i32 v10, v14, 0, 13
	v_and_or_b32 v8, v12, s15, v8
	v_or_b32_e32 v14, 0x1000, v6
	v_add_u32_e32 v11, 0xfffffc10, v11
	v_med3_i32 v12, v15, 0, 13
	v_cmp_ne_u32_e32 vcc, 0, v6
	v_or_b32_e32 v16, 0x1000, v8
	v_lshrrev_b32_e32 v18, v10, v14
	v_add_u32_e32 v13, 0xfffffc10, v13
	v_lshl_or_b32 v15, v11, 12, v6
	v_cndmask_b32_e64 v6, 0, 1, vcc
	v_cmp_ne_u32_e32 vcc, 0, v8
	v_lshrrev_b32_e32 v19, v12, v16
	v_lshlrev_b32_e32 v10, v10, v18
	v_lshl_or_b32 v17, v13, 12, v8
	v_cndmask_b32_e64 v8, 0, 1, vcc
	v_lshlrev_b32_e32 v12, v12, v19
	v_cmp_ne_u32_e32 vcc, v10, v14
	v_lshl_or_b32 v6, v6, 9, v4
	v_lshl_or_b32 v8, v8, 9, v4
	v_cndmask_b32_e64 v10, 0, 1, vcc
	v_cmp_ne_u32_e32 vcc, v12, v16
	v_or_b32_e32 v10, v18, v10
	v_and_b32_sdwa v7, v7, s14 dst_sel:DWORD dst_unused:UNUSED_PAD src0_sel:WORD_1 src1_sel:DWORD
	v_cndmask_b32_e64 v12, 0, 1, vcc
	v_cmp_gt_i32_e32 vcc, 1, v11
	v_or_b32_e32 v12, v19, v12
	v_lshrrev_b32_e32 v9, 16, v9
	v_cndmask_b32_e32 v10, v15, v10, vcc
	v_cmp_gt_i32_e32 vcc, 1, v13
	v_and_b32_e32 v14, 7, v10
	v_cmp_eq_u32_e64 s[0:1], 3, v14
	v_cndmask_b32_e32 v12, v17, v12, vcc
	v_cmp_lt_i32_e32 vcc, 5, v14
	v_lshrrev_b32_e32 v10, 2, v10
	v_and_b32_e32 v15, 7, v12
	s_or_b64 vcc, s[0:1], vcc
	v_cmp_lt_i32_e64 s[2:3], 5, v15
	v_cmp_eq_u32_e64 s[4:5], 3, v15
	v_addc_co_u32_e32 v10, vcc, 0, v10, vcc
	v_lshrrev_b32_e32 v12, 2, v12
	s_or_b64 vcc, s[4:5], s[2:3]
	v_addc_co_u32_e32 v12, vcc, 0, v12, vcc
	v_cmp_gt_i32_e32 vcc, 31, v11
	s_nop 1
	v_cndmask_b32_e32 v10, v4, v10, vcc
	v_cmp_gt_i32_e32 vcc, 31, v13
	s_nop 1
	v_cndmask_b32_e32 v12, v4, v12, vcc
	v_cmp_eq_u32_e32 vcc, s10, v11
	s_nop 1
	v_cndmask_b32_e32 v6, v10, v6, vcc
	v_cmp_eq_u32_e32 vcc, s10, v13
	v_bitop3_b32 v6, v7, s17, v6 bitop3:0xc8
	s_nop 0
	v_cndmask_b32_e32 v8, v12, v8, vcc
	v_and_or_b32 v8, v9, s14, v8
	v_lshl_or_b32 v6, v8, 16, v6
	global_store_dword v[2:3], v6, off
	global_load_dword v8, v30, s[12:13] offset:1440
	v_add_u32_e32 v6, 0x400, v30
	ds_read2_b32 v[6:7], v6 offset0:104 offset1:224
	v_mad_u64_u32 v[2:3], s[0:1], s8, v5, v[2:3]
	v_add_u32_e32 v3, s11, v3
	s_waitcnt lgkmcnt(0)
	v_lshrrev_b32_e32 v9, 16, v6
	s_waitcnt vmcnt(0)
	v_mul_f16_sdwa v10, v9, v8 dst_sel:DWORD dst_unused:UNUSED_PAD src0_sel:DWORD src1_sel:WORD_1
	v_mul_f16_sdwa v11, v6, v8 dst_sel:DWORD dst_unused:UNUSED_PAD src0_sel:DWORD src1_sel:WORD_1
	v_fma_f16 v6, v6, v8, v10
	v_fma_f16 v8, v8, v9, -v11
	v_cvt_f32_f16_e32 v6, v6
	v_cvt_f32_f16_e32 v10, v8
	v_cvt_f64_f32_e32 v[8:9], v6
	v_cvt_f64_f32_e32 v[10:11], v10
	v_mul_f64 v[8:9], v[8:9], s[6:7]
	v_mul_f64 v[10:11], v[10:11], s[6:7]
	v_and_or_b32 v6, v9, s16, v8
	v_and_or_b32 v10, v11, s16, v10
	v_cmp_ne_u32_e32 vcc, 0, v6
	v_lshrrev_b32_e32 v8, 8, v9
	v_bfe_u32 v12, v9, 20, 11
	v_cndmask_b32_e64 v6, 0, 1, vcc
	v_cmp_ne_u32_e32 vcc, 0, v10
	v_lshrrev_b32_e32 v13, 8, v11
	v_bfe_u32 v14, v11, 20, 11
	v_sub_u32_e32 v15, 0x3f1, v12
	v_cndmask_b32_e64 v10, 0, 1, vcc
	v_and_or_b32 v6, v8, s15, v6
	v_sub_u32_e32 v16, 0x3f1, v14
	v_med3_i32 v8, v15, 0, 13
	v_and_or_b32 v10, v13, s15, v10
	v_or_b32_e32 v15, 0x1000, v6
	v_add_u32_e32 v12, 0xfffffc10, v12
	v_med3_i32 v13, v16, 0, 13
	v_cmp_ne_u32_e32 vcc, 0, v6
	v_or_b32_e32 v17, 0x1000, v10
	v_lshrrev_b32_e32 v19, v8, v15
	v_add_u32_e32 v14, 0xfffffc10, v14
	v_lshl_or_b32 v16, v12, 12, v6
	v_cndmask_b32_e64 v6, 0, 1, vcc
	v_cmp_ne_u32_e32 vcc, 0, v10
	v_lshrrev_b32_e32 v20, v13, v17
	v_lshlrev_b32_e32 v8, v8, v19
	v_lshl_or_b32 v18, v14, 12, v10
	v_cndmask_b32_e64 v10, 0, 1, vcc
	v_lshlrev_b32_e32 v13, v13, v20
	v_cmp_ne_u32_e32 vcc, v8, v15
	v_lshl_or_b32 v6, v6, 9, v4
	v_lshl_or_b32 v10, v10, 9, v4
	v_cndmask_b32_e64 v8, 0, 1, vcc
	v_cmp_ne_u32_e32 vcc, v13, v17
	v_or_b32_e32 v8, v19, v8
	v_and_b32_sdwa v9, v9, s14 dst_sel:DWORD dst_unused:UNUSED_PAD src0_sel:WORD_1 src1_sel:DWORD
	v_cndmask_b32_e64 v13, 0, 1, vcc
	v_cmp_gt_i32_e32 vcc, 1, v12
	v_or_b32_e32 v13, v20, v13
	v_lshrrev_b32_e32 v11, 16, v11
	v_cndmask_b32_e32 v8, v16, v8, vcc
	v_cmp_gt_i32_e32 vcc, 1, v14
	v_and_b32_e32 v15, 7, v8
	v_cmp_eq_u32_e64 s[0:1], 3, v15
	v_cndmask_b32_e32 v13, v18, v13, vcc
	v_cmp_lt_i32_e32 vcc, 5, v15
	v_lshrrev_b32_e32 v8, 2, v8
	v_and_b32_e32 v16, 7, v13
	s_or_b64 vcc, s[0:1], vcc
	v_cmp_lt_i32_e64 s[2:3], 5, v16
	v_cmp_eq_u32_e64 s[4:5], 3, v16
	v_addc_co_u32_e32 v8, vcc, 0, v8, vcc
	v_lshrrev_b32_e32 v13, 2, v13
	s_or_b64 vcc, s[4:5], s[2:3]
	v_addc_co_u32_e32 v13, vcc, 0, v13, vcc
	v_cmp_gt_i32_e32 vcc, 31, v12
	s_nop 1
	v_cndmask_b32_e32 v8, v4, v8, vcc
	v_cmp_gt_i32_e32 vcc, 31, v14
	s_nop 1
	v_cndmask_b32_e32 v13, v4, v13, vcc
	v_cmp_eq_u32_e32 vcc, s10, v12
	s_nop 1
	v_cndmask_b32_e32 v6, v8, v6, vcc
	v_cmp_eq_u32_e32 vcc, s10, v14
	v_bitop3_b32 v6, v9, s17, v6 bitop3:0xc8
	s_nop 0
	v_cndmask_b32_e32 v8, v13, v10, vcc
	v_and_or_b32 v8, v11, s14, v8
	v_lshl_or_b32 v6, v8, 16, v6
	global_store_dword v[2:3], v6, off
	global_load_dword v6, v30, s[12:13] offset:1920
	v_lshrrev_b32_e32 v8, 16, v7
	v_mad_u64_u32 v[2:3], s[0:1], s8, v5, v[2:3]
	v_add_u32_e32 v3, s11, v3
	s_waitcnt vmcnt(0)
	v_mul_f16_sdwa v9, v8, v6 dst_sel:DWORD dst_unused:UNUSED_PAD src0_sel:DWORD src1_sel:WORD_1
	v_mul_f16_sdwa v10, v7, v6 dst_sel:DWORD dst_unused:UNUSED_PAD src0_sel:DWORD src1_sel:WORD_1
	v_fma_f16 v7, v7, v6, v9
	v_fma_f16 v6, v6, v8, -v10
	v_cvt_f32_f16_e32 v7, v7
	v_cvt_f32_f16_e32 v8, v6
	v_cvt_f64_f32_e32 v[6:7], v7
	v_cvt_f64_f32_e32 v[8:9], v8
	v_mul_f64 v[6:7], v[6:7], s[6:7]
	v_mul_f64 v[8:9], v[8:9], s[6:7]
	v_and_or_b32 v6, v7, s16, v6
	v_and_or_b32 v8, v9, s16, v8
	v_cmp_ne_u32_e32 vcc, 0, v6
	v_lshrrev_b32_e32 v10, 8, v7
	v_bfe_u32 v11, v7, 20, 11
	v_cndmask_b32_e64 v6, 0, 1, vcc
	v_cmp_ne_u32_e32 vcc, 0, v8
	v_lshrrev_b32_e32 v12, 8, v9
	v_bfe_u32 v13, v9, 20, 11
	v_sub_u32_e32 v14, 0x3f1, v11
	v_cndmask_b32_e64 v8, 0, 1, vcc
	v_and_or_b32 v6, v10, s15, v6
	v_sub_u32_e32 v15, 0x3f1, v13
	v_med3_i32 v10, v14, 0, 13
	v_and_or_b32 v8, v12, s15, v8
	v_or_b32_e32 v14, 0x1000, v6
	v_add_u32_e32 v11, 0xfffffc10, v11
	v_med3_i32 v12, v15, 0, 13
	v_cmp_ne_u32_e32 vcc, 0, v6
	v_or_b32_e32 v16, 0x1000, v8
	v_lshrrev_b32_e32 v18, v10, v14
	v_add_u32_e32 v13, 0xfffffc10, v13
	v_lshl_or_b32 v15, v11, 12, v6
	v_cndmask_b32_e64 v6, 0, 1, vcc
	v_cmp_ne_u32_e32 vcc, 0, v8
	v_lshrrev_b32_e32 v19, v12, v16
	v_lshlrev_b32_e32 v10, v10, v18
	v_lshl_or_b32 v17, v13, 12, v8
	v_cndmask_b32_e64 v8, 0, 1, vcc
	v_lshlrev_b32_e32 v12, v12, v19
	v_cmp_ne_u32_e32 vcc, v10, v14
	v_lshl_or_b32 v6, v6, 9, v4
	v_lshl_or_b32 v8, v8, 9, v4
	v_cndmask_b32_e64 v10, 0, 1, vcc
	v_cmp_ne_u32_e32 vcc, v12, v16
	v_or_b32_e32 v10, v18, v10
	v_and_b32_sdwa v7, v7, s14 dst_sel:DWORD dst_unused:UNUSED_PAD src0_sel:WORD_1 src1_sel:DWORD
	v_cndmask_b32_e64 v12, 0, 1, vcc
	v_cmp_gt_i32_e32 vcc, 1, v11
	v_or_b32_e32 v12, v19, v12
	v_lshrrev_b32_e32 v9, 16, v9
	v_cndmask_b32_e32 v10, v15, v10, vcc
	v_cmp_gt_i32_e32 vcc, 1, v13
	v_and_b32_e32 v14, 7, v10
	v_cmp_eq_u32_e64 s[0:1], 3, v14
	v_cndmask_b32_e32 v12, v17, v12, vcc
	v_cmp_lt_i32_e32 vcc, 5, v14
	v_lshrrev_b32_e32 v10, 2, v10
	v_and_b32_e32 v15, 7, v12
	s_or_b64 vcc, s[0:1], vcc
	v_cmp_lt_i32_e64 s[2:3], 5, v15
	v_cmp_eq_u32_e64 s[4:5], 3, v15
	v_addc_co_u32_e32 v10, vcc, 0, v10, vcc
	v_lshrrev_b32_e32 v12, 2, v12
	s_or_b64 vcc, s[4:5], s[2:3]
	v_addc_co_u32_e32 v12, vcc, 0, v12, vcc
	v_cmp_gt_i32_e32 vcc, 31, v11
	s_nop 1
	v_cndmask_b32_e32 v10, v4, v10, vcc
	v_cmp_gt_i32_e32 vcc, 31, v13
	s_nop 1
	v_cndmask_b32_e32 v12, v4, v12, vcc
	v_cmp_eq_u32_e32 vcc, s10, v11
	s_nop 1
	v_cndmask_b32_e32 v6, v10, v6, vcc
	v_cmp_eq_u32_e32 vcc, s10, v13
	v_bitop3_b32 v6, v7, s17, v6 bitop3:0xc8
	s_nop 0
	v_cndmask_b32_e32 v8, v12, v8, vcc
	v_and_or_b32 v8, v9, s14, v8
	v_lshl_or_b32 v6, v8, 16, v6
	global_store_dword v[2:3], v6, off
	global_load_dword v8, v30, s[12:13] offset:2400
	v_add_u32_e32 v6, 0x800, v30
	ds_read2_b32 v[6:7], v6 offset0:88 offset1:208
	v_mad_u64_u32 v[2:3], s[0:1], s8, v5, v[2:3]
	v_add_u32_e32 v3, s11, v3
	s_waitcnt lgkmcnt(0)
	v_lshrrev_b32_e32 v9, 16, v6
	s_waitcnt vmcnt(0)
	v_mul_f16_sdwa v10, v9, v8 dst_sel:DWORD dst_unused:UNUSED_PAD src0_sel:DWORD src1_sel:WORD_1
	v_mul_f16_sdwa v11, v6, v8 dst_sel:DWORD dst_unused:UNUSED_PAD src0_sel:DWORD src1_sel:WORD_1
	v_fma_f16 v6, v6, v8, v10
	v_fma_f16 v8, v8, v9, -v11
	v_cvt_f32_f16_e32 v6, v6
	v_cvt_f32_f16_e32 v10, v8
	v_cvt_f64_f32_e32 v[8:9], v6
	v_cvt_f64_f32_e32 v[10:11], v10
	v_mul_f64 v[8:9], v[8:9], s[6:7]
	v_mul_f64 v[10:11], v[10:11], s[6:7]
	v_and_or_b32 v6, v9, s16, v8
	v_and_or_b32 v10, v11, s16, v10
	v_cmp_ne_u32_e32 vcc, 0, v6
	v_lshrrev_b32_e32 v8, 8, v9
	v_bfe_u32 v12, v9, 20, 11
	v_cndmask_b32_e64 v6, 0, 1, vcc
	v_cmp_ne_u32_e32 vcc, 0, v10
	v_lshrrev_b32_e32 v13, 8, v11
	v_bfe_u32 v14, v11, 20, 11
	v_sub_u32_e32 v15, 0x3f1, v12
	v_cndmask_b32_e64 v10, 0, 1, vcc
	v_and_or_b32 v6, v8, s15, v6
	v_sub_u32_e32 v16, 0x3f1, v14
	v_med3_i32 v8, v15, 0, 13
	v_and_or_b32 v10, v13, s15, v10
	v_or_b32_e32 v15, 0x1000, v6
	v_add_u32_e32 v12, 0xfffffc10, v12
	v_med3_i32 v13, v16, 0, 13
	v_cmp_ne_u32_e32 vcc, 0, v6
	v_or_b32_e32 v17, 0x1000, v10
	v_lshrrev_b32_e32 v19, v8, v15
	v_add_u32_e32 v14, 0xfffffc10, v14
	v_lshl_or_b32 v16, v12, 12, v6
	v_cndmask_b32_e64 v6, 0, 1, vcc
	v_cmp_ne_u32_e32 vcc, 0, v10
	v_lshrrev_b32_e32 v20, v13, v17
	v_lshlrev_b32_e32 v8, v8, v19
	v_lshl_or_b32 v18, v14, 12, v10
	v_cndmask_b32_e64 v10, 0, 1, vcc
	v_lshlrev_b32_e32 v13, v13, v20
	v_cmp_ne_u32_e32 vcc, v8, v15
	v_lshl_or_b32 v6, v6, 9, v4
	v_lshl_or_b32 v10, v10, 9, v4
	v_cndmask_b32_e64 v8, 0, 1, vcc
	v_cmp_ne_u32_e32 vcc, v13, v17
	v_or_b32_e32 v8, v19, v8
	v_and_b32_sdwa v9, v9, s14 dst_sel:DWORD dst_unused:UNUSED_PAD src0_sel:WORD_1 src1_sel:DWORD
	v_cndmask_b32_e64 v13, 0, 1, vcc
	v_cmp_gt_i32_e32 vcc, 1, v12
	v_or_b32_e32 v13, v20, v13
	v_lshrrev_b32_e32 v11, 16, v11
	v_cndmask_b32_e32 v8, v16, v8, vcc
	v_cmp_gt_i32_e32 vcc, 1, v14
	v_and_b32_e32 v15, 7, v8
	v_cmp_eq_u32_e64 s[0:1], 3, v15
	v_cndmask_b32_e32 v13, v18, v13, vcc
	v_cmp_lt_i32_e32 vcc, 5, v15
	v_lshrrev_b32_e32 v8, 2, v8
	v_and_b32_e32 v16, 7, v13
	s_or_b64 vcc, s[0:1], vcc
	v_cmp_lt_i32_e64 s[2:3], 5, v16
	v_cmp_eq_u32_e64 s[4:5], 3, v16
	v_addc_co_u32_e32 v8, vcc, 0, v8, vcc
	v_lshrrev_b32_e32 v13, 2, v13
	s_or_b64 vcc, s[4:5], s[2:3]
	v_addc_co_u32_e32 v13, vcc, 0, v13, vcc
	v_cmp_gt_i32_e32 vcc, 31, v12
	s_nop 1
	v_cndmask_b32_e32 v8, v4, v8, vcc
	v_cmp_gt_i32_e32 vcc, 31, v14
	s_nop 1
	v_cndmask_b32_e32 v13, v4, v13, vcc
	v_cmp_eq_u32_e32 vcc, s10, v12
	s_nop 1
	v_cndmask_b32_e32 v6, v8, v6, vcc
	v_cmp_eq_u32_e32 vcc, s10, v14
	v_bitop3_b32 v6, v9, s17, v6 bitop3:0xc8
	s_nop 0
	v_cndmask_b32_e32 v8, v13, v10, vcc
	v_and_or_b32 v8, v11, s14, v8
	v_lshl_or_b32 v6, v8, 16, v6
	global_store_dword v[2:3], v6, off
	global_load_dword v6, v30, s[12:13] offset:2880
	v_lshrrev_b32_e32 v8, 16, v7
	v_mad_u64_u32 v[2:3], s[0:1], s8, v5, v[2:3]
	v_add_u32_e32 v3, s11, v3
	s_waitcnt vmcnt(0)
	v_mul_f16_sdwa v9, v8, v6 dst_sel:DWORD dst_unused:UNUSED_PAD src0_sel:DWORD src1_sel:WORD_1
	v_mul_f16_sdwa v10, v7, v6 dst_sel:DWORD dst_unused:UNUSED_PAD src0_sel:DWORD src1_sel:WORD_1
	v_fma_f16 v7, v7, v6, v9
	v_fma_f16 v6, v6, v8, -v10
	v_cvt_f32_f16_e32 v7, v7
	v_cvt_f32_f16_e32 v8, v6
	v_cvt_f64_f32_e32 v[6:7], v7
	v_cvt_f64_f32_e32 v[8:9], v8
	v_mul_f64 v[6:7], v[6:7], s[6:7]
	v_mul_f64 v[8:9], v[8:9], s[6:7]
	v_and_or_b32 v6, v7, s16, v6
	v_and_or_b32 v8, v9, s16, v8
	v_cmp_ne_u32_e32 vcc, 0, v6
	v_lshrrev_b32_e32 v10, 8, v7
	v_bfe_u32 v11, v7, 20, 11
	v_cndmask_b32_e64 v6, 0, 1, vcc
	v_cmp_ne_u32_e32 vcc, 0, v8
	v_lshrrev_b32_e32 v12, 8, v9
	v_bfe_u32 v13, v9, 20, 11
	v_sub_u32_e32 v14, 0x3f1, v11
	v_cndmask_b32_e64 v8, 0, 1, vcc
	v_and_or_b32 v6, v10, s15, v6
	v_sub_u32_e32 v15, 0x3f1, v13
	v_med3_i32 v10, v14, 0, 13
	v_and_or_b32 v8, v12, s15, v8
	v_or_b32_e32 v14, 0x1000, v6
	v_add_u32_e32 v11, 0xfffffc10, v11
	v_med3_i32 v12, v15, 0, 13
	v_cmp_ne_u32_e32 vcc, 0, v6
	v_or_b32_e32 v16, 0x1000, v8
	v_lshrrev_b32_e32 v18, v10, v14
	v_add_u32_e32 v13, 0xfffffc10, v13
	v_lshl_or_b32 v15, v11, 12, v6
	v_cndmask_b32_e64 v6, 0, 1, vcc
	v_cmp_ne_u32_e32 vcc, 0, v8
	v_lshrrev_b32_e32 v19, v12, v16
	v_lshlrev_b32_e32 v10, v10, v18
	v_lshl_or_b32 v17, v13, 12, v8
	v_cndmask_b32_e64 v8, 0, 1, vcc
	v_lshlrev_b32_e32 v12, v12, v19
	v_cmp_ne_u32_e32 vcc, v10, v14
	v_lshl_or_b32 v6, v6, 9, v4
	v_lshl_or_b32 v8, v8, 9, v4
	v_cndmask_b32_e64 v10, 0, 1, vcc
	v_cmp_ne_u32_e32 vcc, v12, v16
	v_or_b32_e32 v10, v18, v10
	v_and_b32_sdwa v7, v7, s14 dst_sel:DWORD dst_unused:UNUSED_PAD src0_sel:WORD_1 src1_sel:DWORD
	v_cndmask_b32_e64 v12, 0, 1, vcc
	v_cmp_gt_i32_e32 vcc, 1, v11
	v_or_b32_e32 v12, v19, v12
	v_lshrrev_b32_e32 v9, 16, v9
	v_cndmask_b32_e32 v10, v15, v10, vcc
	v_cmp_gt_i32_e32 vcc, 1, v13
	v_and_b32_e32 v14, 7, v10
	v_cmp_eq_u32_e64 s[0:1], 3, v14
	v_cndmask_b32_e32 v12, v17, v12, vcc
	v_cmp_lt_i32_e32 vcc, 5, v14
	v_lshrrev_b32_e32 v10, 2, v10
	v_and_b32_e32 v15, 7, v12
	s_or_b64 vcc, s[0:1], vcc
	v_cmp_lt_i32_e64 s[2:3], 5, v15
	v_cmp_eq_u32_e64 s[4:5], 3, v15
	v_addc_co_u32_e32 v10, vcc, 0, v10, vcc
	v_lshrrev_b32_e32 v12, 2, v12
	s_or_b64 vcc, s[4:5], s[2:3]
	v_addc_co_u32_e32 v12, vcc, 0, v12, vcc
	v_cmp_gt_i32_e32 vcc, 31, v11
	s_nop 1
	v_cndmask_b32_e32 v10, v4, v10, vcc
	v_cmp_gt_i32_e32 vcc, 31, v13
	s_nop 1
	v_cndmask_b32_e32 v12, v4, v12, vcc
	v_cmp_eq_u32_e32 vcc, s10, v11
	s_nop 1
	v_cndmask_b32_e32 v6, v10, v6, vcc
	v_cmp_eq_u32_e32 vcc, s10, v13
	v_bitop3_b32 v6, v7, s17, v6 bitop3:0xc8
	s_nop 0
	v_cndmask_b32_e32 v8, v12, v8, vcc
	v_and_or_b32 v8, v9, s14, v8
	v_lshl_or_b32 v6, v8, 16, v6
	global_store_dword v[2:3], v6, off
	global_load_dword v8, v30, s[12:13] offset:3360
	v_add_u32_e32 v6, 0xc00, v30
	ds_read2_b32 v[6:7], v6 offset0:72 offset1:192
	s_waitcnt lgkmcnt(0)
	v_lshrrev_b32_e32 v9, 16, v6
	s_waitcnt vmcnt(0)
	v_mul_f16_sdwa v10, v9, v8 dst_sel:DWORD dst_unused:UNUSED_PAD src0_sel:DWORD src1_sel:WORD_1
	v_mul_f16_sdwa v11, v6, v8 dst_sel:DWORD dst_unused:UNUSED_PAD src0_sel:DWORD src1_sel:WORD_1
	v_fma_f16 v6, v6, v8, v10
	v_fma_f16 v8, v8, v9, -v11
	v_cvt_f32_f16_e32 v6, v6
	v_cvt_f32_f16_e32 v10, v8
	v_mad_u64_u32 v[8:9], s[0:1], s8, v5, v[2:3]
	v_cvt_f64_f32_e32 v[2:3], v6
	v_cvt_f64_f32_e32 v[10:11], v10
	v_mul_f64 v[2:3], v[2:3], s[6:7]
	v_mul_f64 v[10:11], v[10:11], s[6:7]
	v_and_or_b32 v2, v3, s16, v2
	v_and_or_b32 v10, v11, s16, v10
	v_cmp_ne_u32_e32 vcc, 0, v2
	v_lshrrev_b32_e32 v6, 8, v3
	v_bfe_u32 v12, v3, 20, 11
	v_cndmask_b32_e64 v2, 0, 1, vcc
	v_cmp_ne_u32_e32 vcc, 0, v10
	v_lshrrev_b32_e32 v13, 8, v11
	v_bfe_u32 v14, v11, 20, 11
	v_sub_u32_e32 v15, 0x3f1, v12
	v_cndmask_b32_e64 v10, 0, 1, vcc
	v_and_or_b32 v2, v6, s15, v2
	v_sub_u32_e32 v16, 0x3f1, v14
	v_med3_i32 v6, v15, 0, 13
	v_and_or_b32 v10, v13, s15, v10
	v_or_b32_e32 v15, 0x1000, v2
	v_add_u32_e32 v12, 0xfffffc10, v12
	v_med3_i32 v13, v16, 0, 13
	v_cmp_ne_u32_e32 vcc, 0, v2
	v_or_b32_e32 v17, 0x1000, v10
	v_lshrrev_b32_e32 v19, v6, v15
	v_add_u32_e32 v14, 0xfffffc10, v14
	v_lshl_or_b32 v16, v12, 12, v2
	v_cndmask_b32_e64 v2, 0, 1, vcc
	v_cmp_ne_u32_e32 vcc, 0, v10
	v_lshrrev_b32_e32 v20, v13, v17
	v_lshlrev_b32_e32 v6, v6, v19
	v_lshl_or_b32 v18, v14, 12, v10
	v_cndmask_b32_e64 v10, 0, 1, vcc
	v_lshlrev_b32_e32 v13, v13, v20
	v_cmp_ne_u32_e32 vcc, v6, v15
	v_lshl_or_b32 v2, v2, 9, v4
	v_lshl_or_b32 v10, v10, 9, v4
	v_cndmask_b32_e64 v6, 0, 1, vcc
	v_cmp_ne_u32_e32 vcc, v13, v17
	v_or_b32_e32 v6, v19, v6
	v_and_b32_sdwa v3, v3, s14 dst_sel:DWORD dst_unused:UNUSED_PAD src0_sel:WORD_1 src1_sel:DWORD
	v_cndmask_b32_e64 v13, 0, 1, vcc
	v_cmp_gt_i32_e32 vcc, 1, v12
	v_or_b32_e32 v13, v20, v13
	v_lshrrev_b32_e32 v11, 16, v11
	v_cndmask_b32_e32 v6, v16, v6, vcc
	v_cmp_gt_i32_e32 vcc, 1, v14
	v_and_b32_e32 v15, 7, v6
	v_cmp_eq_u32_e64 s[0:1], 3, v15
	v_cndmask_b32_e32 v13, v18, v13, vcc
	v_cmp_lt_i32_e32 vcc, 5, v15
	v_lshrrev_b32_e32 v6, 2, v6
	v_and_b32_e32 v16, 7, v13
	s_or_b64 vcc, s[0:1], vcc
	v_cmp_lt_i32_e64 s[2:3], 5, v16
	v_cmp_eq_u32_e64 s[4:5], 3, v16
	v_addc_co_u32_e32 v6, vcc, 0, v6, vcc
	v_lshrrev_b32_e32 v13, 2, v13
	s_or_b64 vcc, s[4:5], s[2:3]
	v_addc_co_u32_e32 v13, vcc, 0, v13, vcc
	v_cmp_gt_i32_e32 vcc, 31, v12
	v_add_u32_e32 v9, s11, v9
	s_movk_i32 s0, 0x1000
	v_cndmask_b32_e32 v6, v4, v6, vcc
	v_cmp_gt_i32_e32 vcc, 31, v14
	s_nop 1
	v_cndmask_b32_e32 v13, v4, v13, vcc
	v_cmp_eq_u32_e32 vcc, s10, v12
	s_nop 1
	v_cndmask_b32_e32 v2, v6, v2, vcc
	v_cmp_eq_u32_e32 vcc, s10, v14
	v_bitop3_b32 v2, v3, s17, v2 bitop3:0xc8
	s_nop 0
	v_cndmask_b32_e32 v6, v13, v10, vcc
	v_and_or_b32 v6, v11, s14, v6
	v_lshl_or_b32 v2, v6, 16, v2
	global_store_dword v[8:9], v2, off
	global_load_dword v6, v30, s[12:13] offset:3840
	v_lshrrev_b32_e32 v10, 16, v7
	v_lshl_add_u64 v[2:3], s[12:13], 0, v[30:31]
	v_add_co_u32_e32 v2, vcc, s0, v2
	s_waitcnt vmcnt(0)
	v_mul_f16_sdwa v11, v10, v6 dst_sel:DWORD dst_unused:UNUSED_PAD src0_sel:DWORD src1_sel:WORD_1
	v_mul_f16_sdwa v12, v7, v6 dst_sel:DWORD dst_unused:UNUSED_PAD src0_sel:DWORD src1_sel:WORD_1
	v_fma_f16 v7, v7, v6, v11
	v_fma_f16 v6, v6, v10, -v12
	v_cvt_f32_f16_e32 v10, v7
	v_cvt_f32_f16_e32 v11, v6
	v_mad_u64_u32 v[6:7], s[0:1], s8, v5, v[8:9]
	v_cvt_f64_f32_e32 v[8:9], v10
	v_cvt_f64_f32_e32 v[10:11], v11
	v_mul_f64 v[8:9], v[8:9], s[6:7]
	v_addc_co_u32_e32 v3, vcc, 0, v3, vcc
	v_mul_f64 v[10:11], v[10:11], s[6:7]
	v_and_or_b32 v8, v9, s16, v8
	v_and_or_b32 v10, v11, s16, v10
	v_cmp_ne_u32_e32 vcc, 0, v8
	v_lshrrev_b32_e32 v12, 8, v9
	v_bfe_u32 v13, v9, 20, 11
	v_cndmask_b32_e64 v8, 0, 1, vcc
	v_cmp_ne_u32_e32 vcc, 0, v10
	v_lshrrev_b32_e32 v14, 8, v11
	v_bfe_u32 v15, v11, 20, 11
	v_sub_u32_e32 v16, 0x3f1, v13
	v_cndmask_b32_e64 v10, 0, 1, vcc
	v_and_or_b32 v8, v12, s15, v8
	v_sub_u32_e32 v17, 0x3f1, v15
	v_med3_i32 v12, v16, 0, 13
	v_and_or_b32 v10, v14, s15, v10
	v_or_b32_e32 v16, 0x1000, v8
	v_add_u32_e32 v13, 0xfffffc10, v13
	v_med3_i32 v14, v17, 0, 13
	v_cmp_ne_u32_e32 vcc, 0, v8
	v_or_b32_e32 v18, 0x1000, v10
	v_lshrrev_b32_e32 v20, v12, v16
	v_add_u32_e32 v15, 0xfffffc10, v15
	v_lshl_or_b32 v17, v13, 12, v8
	v_cndmask_b32_e64 v8, 0, 1, vcc
	v_cmp_ne_u32_e32 vcc, 0, v10
	v_lshrrev_b32_e32 v21, v14, v18
	v_lshlrev_b32_e32 v12, v12, v20
	v_lshl_or_b32 v19, v15, 12, v10
	v_cndmask_b32_e64 v10, 0, 1, vcc
	v_lshlrev_b32_e32 v14, v14, v21
	v_cmp_ne_u32_e32 vcc, v12, v16
	v_lshl_or_b32 v8, v8, 9, v4
	v_lshl_or_b32 v10, v10, 9, v4
	v_cndmask_b32_e64 v12, 0, 1, vcc
	v_cmp_ne_u32_e32 vcc, v14, v18
	v_or_b32_e32 v12, v20, v12
	v_and_b32_sdwa v9, v9, s14 dst_sel:DWORD dst_unused:UNUSED_PAD src0_sel:WORD_1 src1_sel:DWORD
	v_cndmask_b32_e64 v14, 0, 1, vcc
	v_cmp_gt_i32_e32 vcc, 1, v13
	v_or_b32_e32 v14, v21, v14
	v_lshrrev_b32_e32 v11, 16, v11
	v_cndmask_b32_e32 v12, v17, v12, vcc
	v_cmp_gt_i32_e32 vcc, 1, v15
	v_and_b32_e32 v16, 7, v12
	v_cmp_eq_u32_e64 s[0:1], 3, v16
	v_cndmask_b32_e32 v14, v19, v14, vcc
	v_cmp_lt_i32_e32 vcc, 5, v16
	v_lshrrev_b32_e32 v12, 2, v12
	v_and_b32_e32 v17, 7, v14
	s_or_b64 vcc, s[0:1], vcc
	v_cmp_lt_i32_e64 s[2:3], 5, v17
	v_cmp_eq_u32_e64 s[4:5], 3, v17
	v_addc_co_u32_e32 v12, vcc, 0, v12, vcc
	v_lshrrev_b32_e32 v14, 2, v14
	s_or_b64 vcc, s[4:5], s[2:3]
	v_addc_co_u32_e32 v14, vcc, 0, v14, vcc
	v_cmp_gt_i32_e32 vcc, 31, v13
	v_add_u32_e32 v7, s11, v7
	s_nop 0
	v_cndmask_b32_e32 v12, v4, v12, vcc
	v_cmp_gt_i32_e32 vcc, 31, v15
	s_nop 1
	v_cndmask_b32_e32 v14, v4, v14, vcc
	v_cmp_eq_u32_e32 vcc, s10, v13
	s_nop 1
	v_cndmask_b32_e32 v8, v12, v8, vcc
	v_cmp_eq_u32_e32 vcc, s10, v15
	v_bitop3_b32 v8, v9, s17, v8 bitop3:0xc8
	s_nop 0
	v_cndmask_b32_e32 v10, v14, v10, vcc
	v_and_or_b32 v10, v11, s14, v10
	v_lshl_or_b32 v8, v10, 16, v8
	global_store_dword v[6:7], v8, off
	global_load_dword v10, v[2:3], off offset:224
	v_add_u32_e32 v8, 0x1000, v30
	ds_read2_b32 v[8:9], v8 offset0:56 offset1:176
	v_mad_u64_u32 v[6:7], s[0:1], s8, v5, v[6:7]
	v_add_u32_e32 v7, s11, v7
	s_waitcnt lgkmcnt(0)
	v_lshrrev_b32_e32 v11, 16, v8
	s_waitcnt vmcnt(0)
	v_mul_f16_sdwa v12, v11, v10 dst_sel:DWORD dst_unused:UNUSED_PAD src0_sel:DWORD src1_sel:WORD_1
	v_mul_f16_sdwa v13, v8, v10 dst_sel:DWORD dst_unused:UNUSED_PAD src0_sel:DWORD src1_sel:WORD_1
	v_fma_f16 v8, v8, v10, v12
	v_fma_f16 v10, v10, v11, -v13
	v_cvt_f32_f16_e32 v8, v8
	v_cvt_f32_f16_e32 v12, v10
	v_cvt_f64_f32_e32 v[10:11], v8
	v_cvt_f64_f32_e32 v[12:13], v12
	v_mul_f64 v[10:11], v[10:11], s[6:7]
	v_mul_f64 v[12:13], v[12:13], s[6:7]
	v_and_or_b32 v8, v11, s16, v10
	v_and_or_b32 v12, v13, s16, v12
	v_cmp_ne_u32_e32 vcc, 0, v8
	v_lshrrev_b32_e32 v10, 8, v11
	v_bfe_u32 v14, v11, 20, 11
	v_cndmask_b32_e64 v8, 0, 1, vcc
	v_cmp_ne_u32_e32 vcc, 0, v12
	v_lshrrev_b32_e32 v15, 8, v13
	v_bfe_u32 v16, v13, 20, 11
	v_sub_u32_e32 v17, 0x3f1, v14
	v_cndmask_b32_e64 v12, 0, 1, vcc
	v_and_or_b32 v8, v10, s15, v8
	v_sub_u32_e32 v18, 0x3f1, v16
	v_med3_i32 v10, v17, 0, 13
	v_and_or_b32 v12, v15, s15, v12
	v_or_b32_e32 v17, 0x1000, v8
	v_add_u32_e32 v14, 0xfffffc10, v14
	v_med3_i32 v15, v18, 0, 13
	v_cmp_ne_u32_e32 vcc, 0, v8
	v_or_b32_e32 v19, 0x1000, v12
	v_lshrrev_b32_e32 v21, v10, v17
	v_add_u32_e32 v16, 0xfffffc10, v16
	v_lshl_or_b32 v18, v14, 12, v8
	v_cndmask_b32_e64 v8, 0, 1, vcc
	v_cmp_ne_u32_e32 vcc, 0, v12
	v_lshrrev_b32_e32 v22, v15, v19
	v_lshlrev_b32_e32 v10, v10, v21
	v_lshl_or_b32 v20, v16, 12, v12
	v_cndmask_b32_e64 v12, 0, 1, vcc
	v_lshlrev_b32_e32 v15, v15, v22
	v_cmp_ne_u32_e32 vcc, v10, v17
	v_lshl_or_b32 v8, v8, 9, v4
	v_lshl_or_b32 v12, v12, 9, v4
	v_cndmask_b32_e64 v10, 0, 1, vcc
	v_cmp_ne_u32_e32 vcc, v15, v19
	v_or_b32_e32 v10, v21, v10
	v_and_b32_sdwa v11, v11, s14 dst_sel:DWORD dst_unused:UNUSED_PAD src0_sel:WORD_1 src1_sel:DWORD
	v_cndmask_b32_e64 v15, 0, 1, vcc
	v_cmp_gt_i32_e32 vcc, 1, v14
	v_or_b32_e32 v15, v22, v15
	v_lshrrev_b32_e32 v13, 16, v13
	v_cndmask_b32_e32 v10, v18, v10, vcc
	v_cmp_gt_i32_e32 vcc, 1, v16
	v_and_b32_e32 v17, 7, v10
	v_cmp_eq_u32_e64 s[0:1], 3, v17
	v_cndmask_b32_e32 v15, v20, v15, vcc
	v_cmp_lt_i32_e32 vcc, 5, v17
	v_lshrrev_b32_e32 v10, 2, v10
	v_and_b32_e32 v18, 7, v15
	s_or_b64 vcc, s[0:1], vcc
	v_cmp_lt_i32_e64 s[2:3], 5, v18
	v_cmp_eq_u32_e64 s[4:5], 3, v18
	v_addc_co_u32_e32 v10, vcc, 0, v10, vcc
	v_lshrrev_b32_e32 v15, 2, v15
	s_or_b64 vcc, s[4:5], s[2:3]
	v_addc_co_u32_e32 v15, vcc, 0, v15, vcc
	v_cmp_gt_i32_e32 vcc, 31, v14
	s_nop 1
	v_cndmask_b32_e32 v10, v4, v10, vcc
	v_cmp_gt_i32_e32 vcc, 31, v16
	s_nop 1
	v_cndmask_b32_e32 v15, v4, v15, vcc
	v_cmp_eq_u32_e32 vcc, s10, v14
	s_nop 1
	v_cndmask_b32_e32 v8, v10, v8, vcc
	v_cmp_eq_u32_e32 vcc, s10, v16
	v_bitop3_b32 v8, v11, s17, v8 bitop3:0xc8
	s_nop 0
	v_cndmask_b32_e32 v10, v15, v12, vcc
	v_and_or_b32 v10, v13, s14, v10
	v_lshl_or_b32 v8, v10, 16, v8
	global_store_dword v[6:7], v8, off
	global_load_dword v8, v[2:3], off offset:704
	v_lshrrev_b32_e32 v10, 16, v9
	v_mad_u64_u32 v[6:7], s[0:1], s8, v5, v[6:7]
	v_add_u32_e32 v7, s11, v7
	s_waitcnt vmcnt(0)
	v_mul_f16_sdwa v11, v10, v8 dst_sel:DWORD dst_unused:UNUSED_PAD src0_sel:DWORD src1_sel:WORD_1
	v_mul_f16_sdwa v12, v9, v8 dst_sel:DWORD dst_unused:UNUSED_PAD src0_sel:DWORD src1_sel:WORD_1
	v_fma_f16 v9, v9, v8, v11
	v_fma_f16 v8, v8, v10, -v12
	v_cvt_f32_f16_e32 v9, v9
	v_cvt_f32_f16_e32 v10, v8
	v_cvt_f64_f32_e32 v[8:9], v9
	v_cvt_f64_f32_e32 v[10:11], v10
	v_mul_f64 v[8:9], v[8:9], s[6:7]
	v_mul_f64 v[10:11], v[10:11], s[6:7]
	v_and_or_b32 v8, v9, s16, v8
	v_and_or_b32 v10, v11, s16, v10
	v_cmp_ne_u32_e32 vcc, 0, v8
	v_lshrrev_b32_e32 v12, 8, v9
	v_bfe_u32 v13, v9, 20, 11
	v_cndmask_b32_e64 v8, 0, 1, vcc
	v_cmp_ne_u32_e32 vcc, 0, v10
	v_lshrrev_b32_e32 v14, 8, v11
	v_bfe_u32 v15, v11, 20, 11
	v_sub_u32_e32 v16, 0x3f1, v13
	v_cndmask_b32_e64 v10, 0, 1, vcc
	v_and_or_b32 v8, v12, s15, v8
	v_sub_u32_e32 v17, 0x3f1, v15
	v_med3_i32 v12, v16, 0, 13
	v_and_or_b32 v10, v14, s15, v10
	v_or_b32_e32 v16, 0x1000, v8
	v_add_u32_e32 v13, 0xfffffc10, v13
	v_med3_i32 v14, v17, 0, 13
	v_cmp_ne_u32_e32 vcc, 0, v8
	v_or_b32_e32 v18, 0x1000, v10
	v_lshrrev_b32_e32 v20, v12, v16
	v_add_u32_e32 v15, 0xfffffc10, v15
	v_lshl_or_b32 v17, v13, 12, v8
	v_cndmask_b32_e64 v8, 0, 1, vcc
	v_cmp_ne_u32_e32 vcc, 0, v10
	v_lshrrev_b32_e32 v21, v14, v18
	v_lshlrev_b32_e32 v12, v12, v20
	v_lshl_or_b32 v19, v15, 12, v10
	v_cndmask_b32_e64 v10, 0, 1, vcc
	v_lshlrev_b32_e32 v14, v14, v21
	v_cmp_ne_u32_e32 vcc, v12, v16
	v_lshl_or_b32 v8, v8, 9, v4
	v_lshl_or_b32 v10, v10, 9, v4
	v_cndmask_b32_e64 v12, 0, 1, vcc
	v_cmp_ne_u32_e32 vcc, v14, v18
	v_or_b32_e32 v12, v20, v12
	v_and_b32_sdwa v9, v9, s14 dst_sel:DWORD dst_unused:UNUSED_PAD src0_sel:WORD_1 src1_sel:DWORD
	v_cndmask_b32_e64 v14, 0, 1, vcc
	v_cmp_gt_i32_e32 vcc, 1, v13
	v_or_b32_e32 v14, v21, v14
	v_lshrrev_b32_e32 v11, 16, v11
	v_cndmask_b32_e32 v12, v17, v12, vcc
	v_cmp_gt_i32_e32 vcc, 1, v15
	v_and_b32_e32 v16, 7, v12
	v_cmp_eq_u32_e64 s[0:1], 3, v16
	v_cndmask_b32_e32 v14, v19, v14, vcc
	v_cmp_lt_i32_e32 vcc, 5, v16
	v_lshrrev_b32_e32 v12, 2, v12
	v_and_b32_e32 v17, 7, v14
	s_or_b64 vcc, s[0:1], vcc
	v_cmp_lt_i32_e64 s[2:3], 5, v17
	v_cmp_eq_u32_e64 s[4:5], 3, v17
	v_addc_co_u32_e32 v12, vcc, 0, v12, vcc
	v_lshrrev_b32_e32 v14, 2, v14
	s_or_b64 vcc, s[4:5], s[2:3]
	v_addc_co_u32_e32 v14, vcc, 0, v14, vcc
	v_cmp_gt_i32_e32 vcc, 31, v13
	s_nop 1
	v_cndmask_b32_e32 v12, v4, v12, vcc
	v_cmp_gt_i32_e32 vcc, 31, v15
	s_nop 1
	v_cndmask_b32_e32 v14, v4, v14, vcc
	v_cmp_eq_u32_e32 vcc, s10, v13
	s_nop 1
	v_cndmask_b32_e32 v8, v12, v8, vcc
	v_cmp_eq_u32_e32 vcc, s10, v15
	v_bitop3_b32 v8, v9, s17, v8 bitop3:0xc8
	s_nop 0
	v_cndmask_b32_e32 v10, v14, v10, vcc
	v_and_or_b32 v10, v11, s14, v10
	v_lshl_or_b32 v8, v10, 16, v8
	global_store_dword v[6:7], v8, off
	global_load_dword v10, v[2:3], off offset:1184
	v_add_u32_e32 v8, 0x1400, v30
	ds_read2_b32 v[8:9], v8 offset0:40 offset1:160
	v_mad_u64_u32 v[6:7], s[0:1], s8, v5, v[6:7]
	v_add_u32_e32 v7, s11, v7
	s_waitcnt lgkmcnt(0)
	v_lshrrev_b32_e32 v11, 16, v8
	s_waitcnt vmcnt(0)
	v_mul_f16_sdwa v12, v11, v10 dst_sel:DWORD dst_unused:UNUSED_PAD src0_sel:DWORD src1_sel:WORD_1
	v_mul_f16_sdwa v13, v8, v10 dst_sel:DWORD dst_unused:UNUSED_PAD src0_sel:DWORD src1_sel:WORD_1
	v_fma_f16 v8, v8, v10, v12
	v_fma_f16 v10, v10, v11, -v13
	v_cvt_f32_f16_e32 v8, v8
	v_cvt_f32_f16_e32 v12, v10
	v_cvt_f64_f32_e32 v[10:11], v8
	v_cvt_f64_f32_e32 v[12:13], v12
	v_mul_f64 v[10:11], v[10:11], s[6:7]
	v_mul_f64 v[12:13], v[12:13], s[6:7]
	v_and_or_b32 v8, v11, s16, v10
	v_and_or_b32 v12, v13, s16, v12
	v_cmp_ne_u32_e32 vcc, 0, v8
	v_lshrrev_b32_e32 v10, 8, v11
	v_bfe_u32 v14, v11, 20, 11
	v_cndmask_b32_e64 v8, 0, 1, vcc
	v_cmp_ne_u32_e32 vcc, 0, v12
	v_lshrrev_b32_e32 v15, 8, v13
	v_bfe_u32 v16, v13, 20, 11
	v_sub_u32_e32 v17, 0x3f1, v14
	v_cndmask_b32_e64 v12, 0, 1, vcc
	v_and_or_b32 v8, v10, s15, v8
	v_sub_u32_e32 v18, 0x3f1, v16
	v_med3_i32 v10, v17, 0, 13
	v_and_or_b32 v12, v15, s15, v12
	v_or_b32_e32 v17, 0x1000, v8
	v_add_u32_e32 v14, 0xfffffc10, v14
	v_med3_i32 v15, v18, 0, 13
	v_cmp_ne_u32_e32 vcc, 0, v8
	v_or_b32_e32 v19, 0x1000, v12
	v_lshrrev_b32_e32 v21, v10, v17
	v_add_u32_e32 v16, 0xfffffc10, v16
	v_lshl_or_b32 v18, v14, 12, v8
	v_cndmask_b32_e64 v8, 0, 1, vcc
	v_cmp_ne_u32_e32 vcc, 0, v12
	v_lshrrev_b32_e32 v22, v15, v19
	v_lshlrev_b32_e32 v10, v10, v21
	v_lshl_or_b32 v20, v16, 12, v12
	v_cndmask_b32_e64 v12, 0, 1, vcc
	v_lshlrev_b32_e32 v15, v15, v22
	v_cmp_ne_u32_e32 vcc, v10, v17
	v_lshl_or_b32 v8, v8, 9, v4
	v_lshl_or_b32 v12, v12, 9, v4
	v_cndmask_b32_e64 v10, 0, 1, vcc
	v_cmp_ne_u32_e32 vcc, v15, v19
	v_or_b32_e32 v10, v21, v10
	v_and_b32_sdwa v11, v11, s14 dst_sel:DWORD dst_unused:UNUSED_PAD src0_sel:WORD_1 src1_sel:DWORD
	v_cndmask_b32_e64 v15, 0, 1, vcc
	v_cmp_gt_i32_e32 vcc, 1, v14
	v_or_b32_e32 v15, v22, v15
	v_lshrrev_b32_e32 v13, 16, v13
	v_cndmask_b32_e32 v10, v18, v10, vcc
	v_cmp_gt_i32_e32 vcc, 1, v16
	v_and_b32_e32 v17, 7, v10
	v_cmp_eq_u32_e64 s[0:1], 3, v17
	v_cndmask_b32_e32 v15, v20, v15, vcc
	v_cmp_lt_i32_e32 vcc, 5, v17
	v_lshrrev_b32_e32 v10, 2, v10
	v_and_b32_e32 v18, 7, v15
	s_or_b64 vcc, s[0:1], vcc
	v_cmp_lt_i32_e64 s[2:3], 5, v18
	v_cmp_eq_u32_e64 s[4:5], 3, v18
	v_addc_co_u32_e32 v10, vcc, 0, v10, vcc
	v_lshrrev_b32_e32 v15, 2, v15
	s_or_b64 vcc, s[4:5], s[2:3]
	v_addc_co_u32_e32 v15, vcc, 0, v15, vcc
	v_cmp_gt_i32_e32 vcc, 31, v14
	s_nop 1
	v_cndmask_b32_e32 v10, v4, v10, vcc
	v_cmp_gt_i32_e32 vcc, 31, v16
	s_nop 1
	v_cndmask_b32_e32 v15, v4, v15, vcc
	v_cmp_eq_u32_e32 vcc, s10, v14
	s_nop 1
	v_cndmask_b32_e32 v8, v10, v8, vcc
	v_cmp_eq_u32_e32 vcc, s10, v16
	v_bitop3_b32 v8, v11, s17, v8 bitop3:0xc8
	s_nop 0
	v_cndmask_b32_e32 v10, v15, v12, vcc
	v_and_or_b32 v10, v13, s14, v10
	v_lshl_or_b32 v8, v10, 16, v8
	global_store_dword v[6:7], v8, off
	global_load_dword v8, v[2:3], off offset:1664
	v_lshrrev_b32_e32 v10, 16, v9
	v_mad_u64_u32 v[6:7], s[0:1], s8, v5, v[6:7]
	v_add_u32_e32 v7, s11, v7
	s_waitcnt vmcnt(0)
	v_mul_f16_sdwa v11, v10, v8 dst_sel:DWORD dst_unused:UNUSED_PAD src0_sel:DWORD src1_sel:WORD_1
	v_mul_f16_sdwa v12, v9, v8 dst_sel:DWORD dst_unused:UNUSED_PAD src0_sel:DWORD src1_sel:WORD_1
	v_fma_f16 v9, v9, v8, v11
	v_fma_f16 v8, v8, v10, -v12
	v_cvt_f32_f16_e32 v9, v9
	v_cvt_f32_f16_e32 v10, v8
	v_cvt_f64_f32_e32 v[8:9], v9
	v_cvt_f64_f32_e32 v[10:11], v10
	v_mul_f64 v[8:9], v[8:9], s[6:7]
	v_mul_f64 v[10:11], v[10:11], s[6:7]
	v_and_or_b32 v8, v9, s16, v8
	v_and_or_b32 v10, v11, s16, v10
	v_cmp_ne_u32_e32 vcc, 0, v8
	v_lshrrev_b32_e32 v12, 8, v9
	v_bfe_u32 v13, v9, 20, 11
	v_cndmask_b32_e64 v8, 0, 1, vcc
	v_cmp_ne_u32_e32 vcc, 0, v10
	v_lshrrev_b32_e32 v14, 8, v11
	v_bfe_u32 v15, v11, 20, 11
	v_sub_u32_e32 v16, 0x3f1, v13
	v_cndmask_b32_e64 v10, 0, 1, vcc
	v_and_or_b32 v8, v12, s15, v8
	v_sub_u32_e32 v17, 0x3f1, v15
	v_med3_i32 v12, v16, 0, 13
	v_and_or_b32 v10, v14, s15, v10
	v_or_b32_e32 v16, 0x1000, v8
	v_add_u32_e32 v13, 0xfffffc10, v13
	v_med3_i32 v14, v17, 0, 13
	v_cmp_ne_u32_e32 vcc, 0, v8
	v_or_b32_e32 v18, 0x1000, v10
	v_lshrrev_b32_e32 v20, v12, v16
	v_add_u32_e32 v15, 0xfffffc10, v15
	v_lshl_or_b32 v17, v13, 12, v8
	v_cndmask_b32_e64 v8, 0, 1, vcc
	v_cmp_ne_u32_e32 vcc, 0, v10
	v_lshrrev_b32_e32 v21, v14, v18
	v_lshlrev_b32_e32 v12, v12, v20
	v_lshl_or_b32 v19, v15, 12, v10
	v_cndmask_b32_e64 v10, 0, 1, vcc
	v_lshlrev_b32_e32 v14, v14, v21
	v_cmp_ne_u32_e32 vcc, v12, v16
	v_lshl_or_b32 v8, v8, 9, v4
	v_lshl_or_b32 v10, v10, 9, v4
	v_cndmask_b32_e64 v12, 0, 1, vcc
	v_cmp_ne_u32_e32 vcc, v14, v18
	v_or_b32_e32 v12, v20, v12
	v_and_b32_sdwa v9, v9, s14 dst_sel:DWORD dst_unused:UNUSED_PAD src0_sel:WORD_1 src1_sel:DWORD
	v_cndmask_b32_e64 v14, 0, 1, vcc
	v_cmp_gt_i32_e32 vcc, 1, v13
	v_or_b32_e32 v14, v21, v14
	v_lshrrev_b32_e32 v11, 16, v11
	v_cndmask_b32_e32 v12, v17, v12, vcc
	v_cmp_gt_i32_e32 vcc, 1, v15
	v_and_b32_e32 v16, 7, v12
	v_cmp_eq_u32_e64 s[0:1], 3, v16
	v_cndmask_b32_e32 v14, v19, v14, vcc
	v_cmp_lt_i32_e32 vcc, 5, v16
	v_lshrrev_b32_e32 v12, 2, v12
	v_and_b32_e32 v17, 7, v14
	s_or_b64 vcc, s[0:1], vcc
	v_cmp_lt_i32_e64 s[2:3], 5, v17
	v_cmp_eq_u32_e64 s[4:5], 3, v17
	v_addc_co_u32_e32 v12, vcc, 0, v12, vcc
	v_lshrrev_b32_e32 v14, 2, v14
	s_or_b64 vcc, s[4:5], s[2:3]
	v_addc_co_u32_e32 v14, vcc, 0, v14, vcc
	v_cmp_gt_i32_e32 vcc, 31, v13
	s_nop 1
	v_cndmask_b32_e32 v12, v4, v12, vcc
	v_cmp_gt_i32_e32 vcc, 31, v15
	s_nop 1
	v_cndmask_b32_e32 v14, v4, v14, vcc
	v_cmp_eq_u32_e32 vcc, s10, v13
	s_nop 1
	v_cndmask_b32_e32 v8, v12, v8, vcc
	v_cmp_eq_u32_e32 vcc, s10, v15
	v_bitop3_b32 v8, v9, s17, v8 bitop3:0xc8
	s_nop 0
	v_cndmask_b32_e32 v10, v14, v10, vcc
	v_and_or_b32 v10, v11, s14, v10
	v_lshl_or_b32 v8, v10, 16, v8
	global_store_dword v[6:7], v8, off
	global_load_dword v10, v[2:3], off offset:2144
	v_add_u32_e32 v8, 0x1800, v30
	ds_read2_b32 v[8:9], v8 offset0:24 offset1:144
	v_mad_u64_u32 v[6:7], s[0:1], s8, v5, v[6:7]
	v_add_u32_e32 v7, s11, v7
	s_waitcnt lgkmcnt(0)
	v_lshrrev_b32_e32 v11, 16, v8
	s_waitcnt vmcnt(0)
	v_mul_f16_sdwa v12, v11, v10 dst_sel:DWORD dst_unused:UNUSED_PAD src0_sel:DWORD src1_sel:WORD_1
	v_mul_f16_sdwa v13, v8, v10 dst_sel:DWORD dst_unused:UNUSED_PAD src0_sel:DWORD src1_sel:WORD_1
	v_fma_f16 v8, v8, v10, v12
	v_fma_f16 v10, v10, v11, -v13
	v_cvt_f32_f16_e32 v8, v8
	v_cvt_f32_f16_e32 v12, v10
	v_cvt_f64_f32_e32 v[10:11], v8
	v_cvt_f64_f32_e32 v[12:13], v12
	v_mul_f64 v[10:11], v[10:11], s[6:7]
	v_mul_f64 v[12:13], v[12:13], s[6:7]
	v_and_or_b32 v8, v11, s16, v10
	v_and_or_b32 v12, v13, s16, v12
	v_cmp_ne_u32_e32 vcc, 0, v8
	v_lshrrev_b32_e32 v10, 8, v11
	v_bfe_u32 v14, v11, 20, 11
	v_cndmask_b32_e64 v8, 0, 1, vcc
	v_cmp_ne_u32_e32 vcc, 0, v12
	v_lshrrev_b32_e32 v15, 8, v13
	v_bfe_u32 v16, v13, 20, 11
	v_sub_u32_e32 v17, 0x3f1, v14
	v_cndmask_b32_e64 v12, 0, 1, vcc
	v_and_or_b32 v8, v10, s15, v8
	v_sub_u32_e32 v18, 0x3f1, v16
	v_med3_i32 v10, v17, 0, 13
	v_and_or_b32 v12, v15, s15, v12
	v_or_b32_e32 v17, 0x1000, v8
	v_add_u32_e32 v14, 0xfffffc10, v14
	v_med3_i32 v15, v18, 0, 13
	v_cmp_ne_u32_e32 vcc, 0, v8
	v_or_b32_e32 v19, 0x1000, v12
	v_lshrrev_b32_e32 v21, v10, v17
	v_add_u32_e32 v16, 0xfffffc10, v16
	v_lshl_or_b32 v18, v14, 12, v8
	v_cndmask_b32_e64 v8, 0, 1, vcc
	v_cmp_ne_u32_e32 vcc, 0, v12
	v_lshrrev_b32_e32 v22, v15, v19
	v_lshlrev_b32_e32 v10, v10, v21
	v_lshl_or_b32 v20, v16, 12, v12
	v_cndmask_b32_e64 v12, 0, 1, vcc
	v_lshlrev_b32_e32 v15, v15, v22
	v_cmp_ne_u32_e32 vcc, v10, v17
	v_lshl_or_b32 v8, v8, 9, v4
	v_lshl_or_b32 v12, v12, 9, v4
	v_cndmask_b32_e64 v10, 0, 1, vcc
	v_cmp_ne_u32_e32 vcc, v15, v19
	v_or_b32_e32 v10, v21, v10
	v_and_b32_sdwa v11, v11, s14 dst_sel:DWORD dst_unused:UNUSED_PAD src0_sel:WORD_1 src1_sel:DWORD
	v_cndmask_b32_e64 v15, 0, 1, vcc
	v_cmp_gt_i32_e32 vcc, 1, v14
	v_or_b32_e32 v15, v22, v15
	v_lshrrev_b32_e32 v13, 16, v13
	v_cndmask_b32_e32 v10, v18, v10, vcc
	v_cmp_gt_i32_e32 vcc, 1, v16
	v_and_b32_e32 v17, 7, v10
	v_cmp_eq_u32_e64 s[0:1], 3, v17
	v_cndmask_b32_e32 v15, v20, v15, vcc
	v_cmp_lt_i32_e32 vcc, 5, v17
	v_lshrrev_b32_e32 v10, 2, v10
	v_and_b32_e32 v18, 7, v15
	s_or_b64 vcc, s[0:1], vcc
	v_cmp_lt_i32_e64 s[2:3], 5, v18
	v_cmp_eq_u32_e64 s[4:5], 3, v18
	v_addc_co_u32_e32 v10, vcc, 0, v10, vcc
	v_lshrrev_b32_e32 v15, 2, v15
	s_or_b64 vcc, s[4:5], s[2:3]
	v_addc_co_u32_e32 v15, vcc, 0, v15, vcc
	v_cmp_gt_i32_e32 vcc, 31, v14
	s_nop 1
	v_cndmask_b32_e32 v10, v4, v10, vcc
	v_cmp_gt_i32_e32 vcc, 31, v16
	s_nop 1
	v_cndmask_b32_e32 v15, v4, v15, vcc
	v_cmp_eq_u32_e32 vcc, s10, v14
	s_nop 1
	v_cndmask_b32_e32 v8, v10, v8, vcc
	v_cmp_eq_u32_e32 vcc, s10, v16
	v_bitop3_b32 v8, v11, s17, v8 bitop3:0xc8
	s_nop 0
	v_cndmask_b32_e32 v10, v15, v12, vcc
	v_and_or_b32 v10, v13, s14, v10
	v_lshl_or_b32 v8, v10, 16, v8
	global_store_dword v[6:7], v8, off
	global_load_dword v8, v[2:3], off offset:2624
	v_lshrrev_b32_e32 v10, 16, v9
	v_mad_u64_u32 v[6:7], s[0:1], s8, v5, v[6:7]
	v_add_u32_e32 v7, s11, v7
	s_waitcnt vmcnt(0)
	v_mul_f16_sdwa v11, v10, v8 dst_sel:DWORD dst_unused:UNUSED_PAD src0_sel:DWORD src1_sel:WORD_1
	v_mul_f16_sdwa v12, v9, v8 dst_sel:DWORD dst_unused:UNUSED_PAD src0_sel:DWORD src1_sel:WORD_1
	v_fma_f16 v9, v9, v8, v11
	v_fma_f16 v8, v8, v10, -v12
	v_cvt_f32_f16_e32 v9, v9
	v_cvt_f32_f16_e32 v10, v8
	v_cvt_f64_f32_e32 v[8:9], v9
	v_cvt_f64_f32_e32 v[10:11], v10
	v_mul_f64 v[8:9], v[8:9], s[6:7]
	v_mul_f64 v[10:11], v[10:11], s[6:7]
	v_and_or_b32 v8, v9, s16, v8
	v_and_or_b32 v10, v11, s16, v10
	v_cmp_ne_u32_e32 vcc, 0, v8
	v_lshrrev_b32_e32 v12, 8, v9
	v_bfe_u32 v13, v9, 20, 11
	v_cndmask_b32_e64 v8, 0, 1, vcc
	v_cmp_ne_u32_e32 vcc, 0, v10
	v_lshrrev_b32_e32 v14, 8, v11
	v_bfe_u32 v15, v11, 20, 11
	v_sub_u32_e32 v16, 0x3f1, v13
	v_cndmask_b32_e64 v10, 0, 1, vcc
	v_and_or_b32 v8, v12, s15, v8
	v_sub_u32_e32 v17, 0x3f1, v15
	v_med3_i32 v12, v16, 0, 13
	v_and_or_b32 v10, v14, s15, v10
	v_or_b32_e32 v16, 0x1000, v8
	v_add_u32_e32 v13, 0xfffffc10, v13
	v_med3_i32 v14, v17, 0, 13
	v_cmp_ne_u32_e32 vcc, 0, v8
	v_or_b32_e32 v18, 0x1000, v10
	v_lshrrev_b32_e32 v20, v12, v16
	v_add_u32_e32 v15, 0xfffffc10, v15
	v_lshl_or_b32 v17, v13, 12, v8
	v_cndmask_b32_e64 v8, 0, 1, vcc
	v_cmp_ne_u32_e32 vcc, 0, v10
	v_lshrrev_b32_e32 v21, v14, v18
	v_lshlrev_b32_e32 v12, v12, v20
	v_lshl_or_b32 v19, v15, 12, v10
	v_cndmask_b32_e64 v10, 0, 1, vcc
	v_lshlrev_b32_e32 v14, v14, v21
	v_cmp_ne_u32_e32 vcc, v12, v16
	v_lshl_or_b32 v8, v8, 9, v4
	v_lshl_or_b32 v10, v10, 9, v4
	v_cndmask_b32_e64 v12, 0, 1, vcc
	v_cmp_ne_u32_e32 vcc, v14, v18
	v_or_b32_e32 v12, v20, v12
	v_and_b32_sdwa v9, v9, s14 dst_sel:DWORD dst_unused:UNUSED_PAD src0_sel:WORD_1 src1_sel:DWORD
	v_cndmask_b32_e64 v14, 0, 1, vcc
	v_cmp_gt_i32_e32 vcc, 1, v13
	v_or_b32_e32 v14, v21, v14
	v_lshrrev_b32_e32 v11, 16, v11
	v_cndmask_b32_e32 v12, v17, v12, vcc
	v_cmp_gt_i32_e32 vcc, 1, v15
	v_and_b32_e32 v16, 7, v12
	v_cmp_eq_u32_e64 s[0:1], 3, v16
	v_cndmask_b32_e32 v14, v19, v14, vcc
	v_cmp_lt_i32_e32 vcc, 5, v16
	v_lshrrev_b32_e32 v12, 2, v12
	v_and_b32_e32 v17, 7, v14
	s_or_b64 vcc, s[0:1], vcc
	v_cmp_lt_i32_e64 s[2:3], 5, v17
	v_cmp_eq_u32_e64 s[4:5], 3, v17
	v_addc_co_u32_e32 v12, vcc, 0, v12, vcc
	v_lshrrev_b32_e32 v14, 2, v14
	s_or_b64 vcc, s[4:5], s[2:3]
	v_addc_co_u32_e32 v14, vcc, 0, v14, vcc
	v_cmp_gt_i32_e32 vcc, 31, v13
	s_nop 1
	v_cndmask_b32_e32 v12, v4, v12, vcc
	v_cmp_gt_i32_e32 vcc, 31, v15
	s_nop 1
	v_cndmask_b32_e32 v14, v4, v14, vcc
	v_cmp_eq_u32_e32 vcc, s10, v13
	s_nop 1
	v_cndmask_b32_e32 v8, v12, v8, vcc
	v_cmp_eq_u32_e32 vcc, s10, v15
	v_bitop3_b32 v8, v9, s17, v8 bitop3:0xc8
	v_or_b32_e32 v12, 0x780, v28
	v_cndmask_b32_e32 v10, v14, v10, vcc
	v_and_or_b32 v10, v11, s14, v10
	v_lshl_or_b32 v8, v10, 16, v8
	global_store_dword v[6:7], v8, off
	global_load_dword v8, v[2:3], off offset:3104
	v_add_u32_e32 v2, 0x1c00, v30
	ds_read2_b32 v[2:3], v2 offset0:8 offset1:128
	v_mad_u64_u32 v[6:7], s[0:1], s8, v5, v[6:7]
	v_add_u32_e32 v7, s11, v7
	v_lshlrev_b32_e32 v13, 2, v12
	s_waitcnt lgkmcnt(0)
	v_lshrrev_b32_e32 v9, 16, v2
	s_waitcnt vmcnt(0)
	v_mul_f16_sdwa v10, v9, v8 dst_sel:DWORD dst_unused:UNUSED_PAD src0_sel:DWORD src1_sel:WORD_1
	v_mul_f16_sdwa v11, v2, v8 dst_sel:DWORD dst_unused:UNUSED_PAD src0_sel:DWORD src1_sel:WORD_1
	v_fma_f16 v2, v2, v8, v10
	v_fma_f16 v8, v8, v9, -v11
	v_cvt_f32_f16_e32 v2, v2
	v_cvt_f32_f16_e32 v10, v8
	v_cvt_f64_f32_e32 v[8:9], v2
	v_cvt_f64_f32_e32 v[10:11], v10
	v_mul_f64 v[8:9], v[8:9], s[6:7]
	v_mul_f64 v[10:11], v[10:11], s[6:7]
	v_and_or_b32 v2, v9, s16, v8
	v_and_or_b32 v10, v11, s16, v10
	v_cmp_ne_u32_e32 vcc, 0, v2
	v_lshrrev_b32_e32 v5, 8, v9
	v_bfe_u32 v8, v9, 20, 11
	v_cndmask_b32_e64 v2, 0, 1, vcc
	v_cmp_ne_u32_e32 vcc, 0, v10
	v_lshrrev_b32_e32 v14, 8, v11
	v_bfe_u32 v15, v11, 20, 11
	v_sub_u32_e32 v16, 0x3f1, v8
	v_cndmask_b32_e64 v10, 0, 1, vcc
	v_and_or_b32 v2, v5, s15, v2
	v_sub_u32_e32 v17, 0x3f1, v15
	v_med3_i32 v5, v16, 0, 13
	v_and_or_b32 v10, v14, s15, v10
	v_or_b32_e32 v16, 0x1000, v2
	v_add_u32_e32 v8, 0xfffffc10, v8
	v_med3_i32 v14, v17, 0, 13
	v_cmp_ne_u32_e32 vcc, 0, v2
	v_or_b32_e32 v18, 0x1000, v10
	v_lshrrev_b32_e32 v20, v5, v16
	v_add_u32_e32 v15, 0xfffffc10, v15
	v_lshl_or_b32 v17, v8, 12, v2
	v_cndmask_b32_e64 v2, 0, 1, vcc
	v_cmp_ne_u32_e32 vcc, 0, v10
	v_lshrrev_b32_e32 v21, v14, v18
	v_lshlrev_b32_e32 v5, v5, v20
	v_lshl_or_b32 v19, v15, 12, v10
	v_cndmask_b32_e64 v10, 0, 1, vcc
	v_lshlrev_b32_e32 v14, v14, v21
	v_cmp_ne_u32_e32 vcc, v5, v16
	v_lshl_or_b32 v2, v2, 9, v4
	v_lshl_or_b32 v10, v10, 9, v4
	v_cndmask_b32_e64 v5, 0, 1, vcc
	v_cmp_ne_u32_e32 vcc, v14, v18
	v_or_b32_e32 v5, v20, v5
	v_and_b32_sdwa v9, v9, s14 dst_sel:DWORD dst_unused:UNUSED_PAD src0_sel:WORD_1 src1_sel:DWORD
	v_cndmask_b32_e64 v14, 0, 1, vcc
	v_cmp_gt_i32_e32 vcc, 1, v8
	v_or_b32_e32 v14, v21, v14
	v_lshrrev_b32_e32 v11, 16, v11
	v_cndmask_b32_e32 v5, v17, v5, vcc
	v_cmp_gt_i32_e32 vcc, 1, v15
	v_and_b32_e32 v16, 7, v5
	v_cmp_eq_u32_e64 s[0:1], 3, v16
	v_cndmask_b32_e32 v14, v19, v14, vcc
	v_cmp_lt_i32_e32 vcc, 5, v16
	v_lshrrev_b32_e32 v5, 2, v5
	v_and_b32_e32 v17, 7, v14
	s_or_b64 vcc, s[0:1], vcc
	v_cmp_lt_i32_e64 s[2:3], 5, v17
	v_cmp_eq_u32_e64 s[4:5], 3, v17
	v_addc_co_u32_e32 v5, vcc, 0, v5, vcc
	v_lshrrev_b32_e32 v14, 2, v14
	s_or_b64 vcc, s[4:5], s[2:3]
	v_addc_co_u32_e32 v14, vcc, 0, v14, vcc
	v_cmp_gt_i32_e32 vcc, 31, v8
	s_nop 1
	v_cndmask_b32_e32 v5, v4, v5, vcc
	v_cmp_gt_i32_e32 vcc, 31, v15
	s_nop 1
	v_cndmask_b32_e32 v14, v4, v14, vcc
	v_cmp_eq_u32_e32 vcc, s10, v8
	s_nop 1
	v_cndmask_b32_e32 v2, v5, v2, vcc
	v_cmp_eq_u32_e32 vcc, s10, v15
	v_bitop3_b32 v2, v9, s17, v2 bitop3:0xc8
	s_nop 0
	v_cndmask_b32_e32 v5, v14, v10, vcc
	v_and_or_b32 v5, v11, s14, v5
	v_lshl_or_b32 v2, v5, 16, v2
	global_store_dword v[6:7], v2, off
	global_load_dword v5, v13, s[12:13]
	v_mad_u64_u32 v[6:7], s[0:1], s8, v12, 0
	v_mov_b32_e32 v2, v7
	v_lshrrev_b32_e32 v7, 16, v3
	s_waitcnt vmcnt(0)
	v_mul_f16_sdwa v8, v7, v5 dst_sel:DWORD dst_unused:UNUSED_PAD src0_sel:DWORD src1_sel:WORD_1
	v_mul_f16_sdwa v9, v3, v5 dst_sel:DWORD dst_unused:UNUSED_PAD src0_sel:DWORD src1_sel:WORD_1
	v_fma_f16 v3, v3, v5, v8
	v_fma_f16 v5, v5, v7, -v9
	v_cvt_f32_f16_e32 v8, v3
	v_cvt_f32_f16_e32 v5, v5
	v_mad_u64_u32 v[2:3], s[0:1], s9, v12, v[2:3]
	v_mov_b32_e32 v7, v2
	v_cvt_f64_f32_e32 v[2:3], v8
	v_cvt_f64_f32_e32 v[8:9], v5
	v_mul_f64 v[2:3], v[2:3], s[6:7]
	v_mul_f64 v[8:9], v[8:9], s[6:7]
	v_and_or_b32 v2, v3, s16, v2
	v_and_or_b32 v8, v9, s16, v8
	v_cmp_ne_u32_e32 vcc, 0, v2
	v_lshrrev_b32_e32 v5, 8, v3
	v_bfe_u32 v10, v3, 20, 11
	v_cndmask_b32_e64 v2, 0, 1, vcc
	v_cmp_ne_u32_e32 vcc, 0, v8
	v_lshrrev_b32_e32 v11, 8, v9
	v_bfe_u32 v12, v9, 20, 11
	v_sub_u32_e32 v13, 0x3f1, v10
	v_cndmask_b32_e64 v8, 0, 1, vcc
	v_and_or_b32 v2, v5, s15, v2
	v_sub_u32_e32 v14, 0x3f1, v12
	v_med3_i32 v5, v13, 0, 13
	v_and_or_b32 v8, v11, s15, v8
	v_or_b32_e32 v13, 0x1000, v2
	v_add_u32_e32 v10, 0xfffffc10, v10
	v_med3_i32 v11, v14, 0, 13
	v_cmp_ne_u32_e32 vcc, 0, v2
	v_or_b32_e32 v15, 0x1000, v8
	v_lshrrev_b32_e32 v17, v5, v13
	v_add_u32_e32 v12, 0xfffffc10, v12
	v_lshl_or_b32 v14, v10, 12, v2
	v_cndmask_b32_e64 v2, 0, 1, vcc
	v_cmp_ne_u32_e32 vcc, 0, v8
	v_lshrrev_b32_e32 v18, v11, v15
	v_lshlrev_b32_e32 v5, v5, v17
	v_lshl_or_b32 v16, v12, 12, v8
	v_cndmask_b32_e64 v8, 0, 1, vcc
	v_lshlrev_b32_e32 v11, v11, v18
	v_cmp_ne_u32_e32 vcc, v5, v13
	v_lshl_or_b32 v2, v2, 9, v4
	v_lshl_or_b32 v8, v8, 9, v4
	v_cndmask_b32_e64 v5, 0, 1, vcc
	v_cmp_ne_u32_e32 vcc, v11, v15
	v_or_b32_e32 v5, v17, v5
	v_and_b32_sdwa v3, v3, s14 dst_sel:DWORD dst_unused:UNUSED_PAD src0_sel:WORD_1 src1_sel:DWORD
	v_cndmask_b32_e64 v11, 0, 1, vcc
	v_cmp_gt_i32_e32 vcc, 1, v10
	v_or_b32_e32 v11, v18, v11
	v_lshrrev_b32_e32 v9, 16, v9
	v_cndmask_b32_e32 v5, v14, v5, vcc
	v_cmp_gt_i32_e32 vcc, 1, v12
	v_and_b32_e32 v13, 7, v5
	v_cmp_eq_u32_e64 s[0:1], 3, v13
	v_cndmask_b32_e32 v11, v16, v11, vcc
	v_cmp_lt_i32_e32 vcc, 5, v13
	v_lshrrev_b32_e32 v5, 2, v5
	v_and_b32_e32 v14, 7, v11
	s_or_b64 vcc, s[0:1], vcc
	v_cmp_lt_i32_e64 s[2:3], 5, v14
	v_cmp_eq_u32_e64 s[4:5], 3, v14
	v_addc_co_u32_e32 v5, vcc, 0, v5, vcc
	v_lshrrev_b32_e32 v11, 2, v11
	s_or_b64 vcc, s[4:5], s[2:3]
	v_addc_co_u32_e32 v11, vcc, 0, v11, vcc
	v_cmp_gt_i32_e32 vcc, 31, v10
	v_lshl_add_u64 v[0:1], v[6:7], 2, v[0:1]
	s_nop 0
	v_cndmask_b32_e32 v5, v4, v5, vcc
	v_cmp_gt_i32_e32 vcc, 31, v12
	s_nop 1
	v_cndmask_b32_e32 v4, v4, v11, vcc
	v_cmp_eq_u32_e32 vcc, s10, v10
	s_nop 1
	v_cndmask_b32_e32 v2, v5, v2, vcc
	v_cmp_eq_u32_e32 vcc, s10, v12
	v_bitop3_b32 v2, v3, s17, v2 bitop3:0xc8
	s_nop 0
	v_cndmask_b32_e32 v4, v4, v8, vcc
	v_and_or_b32 v4, v9, s14, v4
	v_lshl_or_b32 v2, v4, 16, v2
	global_store_dword v[0:1], v2, off
.LBB0_23:
	s_endpgm
	.section	.rodata,"a",@progbits
	.p2align	6, 0x0
	.amdhsa_kernel bluestein_single_back_len2040_dim1_half_op_CI_CI
		.amdhsa_group_segment_fixed_size 8160
		.amdhsa_private_segment_fixed_size 0
		.amdhsa_kernarg_size 104
		.amdhsa_user_sgpr_count 2
		.amdhsa_user_sgpr_dispatch_ptr 0
		.amdhsa_user_sgpr_queue_ptr 0
		.amdhsa_user_sgpr_kernarg_segment_ptr 1
		.amdhsa_user_sgpr_dispatch_id 0
		.amdhsa_user_sgpr_kernarg_preload_length 0
		.amdhsa_user_sgpr_kernarg_preload_offset 0
		.amdhsa_user_sgpr_private_segment_size 0
		.amdhsa_uses_dynamic_stack 0
		.amdhsa_enable_private_segment 0
		.amdhsa_system_sgpr_workgroup_id_x 1
		.amdhsa_system_sgpr_workgroup_id_y 0
		.amdhsa_system_sgpr_workgroup_id_z 0
		.amdhsa_system_sgpr_workgroup_info 0
		.amdhsa_system_vgpr_workitem_id 0
		.amdhsa_next_free_vgpr 294
		.amdhsa_next_free_sgpr 35
		.amdhsa_accum_offset 256
		.amdhsa_reserve_vcc 1
		.amdhsa_float_round_mode_32 0
		.amdhsa_float_round_mode_16_64 0
		.amdhsa_float_denorm_mode_32 3
		.amdhsa_float_denorm_mode_16_64 3
		.amdhsa_dx10_clamp 1
		.amdhsa_ieee_mode 1
		.amdhsa_fp16_overflow 0
		.amdhsa_tg_split 0
		.amdhsa_exception_fp_ieee_invalid_op 0
		.amdhsa_exception_fp_denorm_src 0
		.amdhsa_exception_fp_ieee_div_zero 0
		.amdhsa_exception_fp_ieee_overflow 0
		.amdhsa_exception_fp_ieee_underflow 0
		.amdhsa_exception_fp_ieee_inexact 0
		.amdhsa_exception_int_div_zero 0
	.end_amdhsa_kernel
	.text
.Lfunc_end0:
	.size	bluestein_single_back_len2040_dim1_half_op_CI_CI, .Lfunc_end0-bluestein_single_back_len2040_dim1_half_op_CI_CI
                                        ; -- End function
	.section	.AMDGPU.csdata,"",@progbits
; Kernel info:
; codeLenInByte = 33316
; NumSgprs: 41
; NumVgprs: 256
; NumAgprs: 38
; TotalNumVgprs: 294
; ScratchSize: 0
; MemoryBound: 0
; FloatMode: 240
; IeeeMode: 1
; LDSByteSize: 8160 bytes/workgroup (compile time only)
; SGPRBlocks: 5
; VGPRBlocks: 36
; NumSGPRsForWavesPerEU: 41
; NumVGPRsForWavesPerEU: 294
; AccumOffset: 256
; Occupancy: 1
; WaveLimiterHint : 1
; COMPUTE_PGM_RSRC2:SCRATCH_EN: 0
; COMPUTE_PGM_RSRC2:USER_SGPR: 2
; COMPUTE_PGM_RSRC2:TRAP_HANDLER: 0
; COMPUTE_PGM_RSRC2:TGID_X_EN: 1
; COMPUTE_PGM_RSRC2:TGID_Y_EN: 0
; COMPUTE_PGM_RSRC2:TGID_Z_EN: 0
; COMPUTE_PGM_RSRC2:TIDIG_COMP_CNT: 0
; COMPUTE_PGM_RSRC3_GFX90A:ACCUM_OFFSET: 63
; COMPUTE_PGM_RSRC3_GFX90A:TG_SPLIT: 0
	.text
	.p2alignl 6, 3212836864
	.fill 256, 4, 3212836864
	.type	__hip_cuid_6b6cede686d45377,@object ; @__hip_cuid_6b6cede686d45377
	.section	.bss,"aw",@nobits
	.globl	__hip_cuid_6b6cede686d45377
__hip_cuid_6b6cede686d45377:
	.byte	0                               ; 0x0
	.size	__hip_cuid_6b6cede686d45377, 1

	.ident	"AMD clang version 19.0.0git (https://github.com/RadeonOpenCompute/llvm-project roc-6.4.0 25133 c7fe45cf4b819c5991fe208aaa96edf142730f1d)"
	.section	".note.GNU-stack","",@progbits
	.addrsig
	.addrsig_sym __hip_cuid_6b6cede686d45377
	.amdgpu_metadata
---
amdhsa.kernels:
  - .agpr_count:     38
    .args:
      - .actual_access:  read_only
        .address_space:  global
        .offset:         0
        .size:           8
        .value_kind:     global_buffer
      - .actual_access:  read_only
        .address_space:  global
        .offset:         8
        .size:           8
        .value_kind:     global_buffer
      - .actual_access:  read_only
        .address_space:  global
        .offset:         16
        .size:           8
        .value_kind:     global_buffer
      - .actual_access:  read_only
        .address_space:  global
        .offset:         24
        .size:           8
        .value_kind:     global_buffer
      - .actual_access:  read_only
        .address_space:  global
        .offset:         32
        .size:           8
        .value_kind:     global_buffer
      - .offset:         40
        .size:           8
        .value_kind:     by_value
      - .address_space:  global
        .offset:         48
        .size:           8
        .value_kind:     global_buffer
      - .address_space:  global
        .offset:         56
        .size:           8
        .value_kind:     global_buffer
      - .address_space:  global
        .offset:         64
        .size:           8
        .value_kind:     global_buffer
      - .address_space:  global
        .offset:         72
        .size:           8
        .value_kind:     global_buffer
      - .offset:         80
        .size:           4
        .value_kind:     by_value
      - .address_space:  global
        .offset:         88
        .size:           8
        .value_kind:     global_buffer
      - .address_space:  global
        .offset:         96
        .size:           8
        .value_kind:     global_buffer
    .group_segment_fixed_size: 8160
    .kernarg_segment_align: 8
    .kernarg_segment_size: 104
    .language:       OpenCL C
    .language_version:
      - 2
      - 0
    .max_flat_workgroup_size: 170
    .name:           bluestein_single_back_len2040_dim1_half_op_CI_CI
    .private_segment_fixed_size: 0
    .sgpr_count:     41
    .sgpr_spill_count: 0
    .symbol:         bluestein_single_back_len2040_dim1_half_op_CI_CI.kd
    .uniform_work_group_size: 1
    .uses_dynamic_stack: false
    .vgpr_count:     294
    .vgpr_spill_count: 0
    .wavefront_size: 64
amdhsa.target:   amdgcn-amd-amdhsa--gfx950
amdhsa.version:
  - 1
  - 2
...

	.end_amdgpu_metadata
